;; amdgpu-corpus repo=zjin-lcf/HeCBench kind=compiled arch=gfx906 opt=O3
	.amdgcn_target "amdgcn-amd-amdhsa--gfx906"
	.amdhsa_code_object_version 6
	.text
	.protected	_Z18reduce_card_devicePii ; -- Begin function _Z18reduce_card_devicePii
	.globl	_Z18reduce_card_devicePii
	.p2align	8
	.type	_Z18reduce_card_devicePii,@function
_Z18reduce_card_devicePii:              ; @_Z18reduce_card_devicePii
; %bb.0:
	s_load_dword s2, s[4:5], 0x8
	s_load_dwordx2 s[0:1], s[4:5], 0x0
	s_waitcnt lgkmcnt(0)
	s_cmp_lt_i32 s2, 1
	s_cbranch_scc1 .LBB0_5
; %bb.1:
	s_lshl_b32 s6, s2, 1
	s_add_u32 s2, s0, 4
	s_addc_u32 s3, s1, 0
	s_mov_b32 s7, 0
	s_mov_b32 s5, -1
                                        ; implicit-def: $sgpr4
	s_branch .LBB0_3
.LBB0_2:                                ;   in Loop: Header=BB0_3 Depth=1
	s_add_i32 s7, s7, 2
	s_add_u32 s2, s2, 8
	s_addc_u32 s3, s3, 0
	s_cmp_lt_i32 s7, s6
	s_cbranch_scc0 .LBB0_6
.LBB0_3:                                ; =>This Inner Loop Header: Depth=1
	s_add_u32 s8, s2, -4
	s_addc_u32 s9, s3, -1
	s_load_dword s8, s[8:9], 0x0
	s_waitcnt lgkmcnt(0)
	s_cmp_le_i32 s8, s5
	s_cbranch_scc1 .LBB0_2
; %bb.4:                                ;   in Loop: Header=BB0_3 Depth=1
	s_load_dword s4, s[2:3], 0x0
	s_mov_b32 s5, s8
	s_branch .LBB0_2
.LBB0_5:
	s_mov_b32 s5, -1
                                        ; implicit-def: $sgpr4
.LBB0_6:
	v_mov_b32_e32 v0, s5
	s_waitcnt lgkmcnt(0)
	v_mov_b32_e32 v1, s4
	v_mov_b32_e32 v2, 0
	global_store_dwordx2 v2, v[0:1], s[0:1]
	s_endpgm
	.section	.rodata,"a",@progbits
	.p2align	6, 0x0
	.amdhsa_kernel _Z18reduce_card_devicePii
		.amdhsa_group_segment_fixed_size 0
		.amdhsa_private_segment_fixed_size 0
		.amdhsa_kernarg_size 12
		.amdhsa_user_sgpr_count 6
		.amdhsa_user_sgpr_private_segment_buffer 1
		.amdhsa_user_sgpr_dispatch_ptr 0
		.amdhsa_user_sgpr_queue_ptr 0
		.amdhsa_user_sgpr_kernarg_segment_ptr 1
		.amdhsa_user_sgpr_dispatch_id 0
		.amdhsa_user_sgpr_flat_scratch_init 0
		.amdhsa_user_sgpr_private_segment_size 0
		.amdhsa_uses_dynamic_stack 0
		.amdhsa_system_sgpr_private_segment_wavefront_offset 0
		.amdhsa_system_sgpr_workgroup_id_x 1
		.amdhsa_system_sgpr_workgroup_id_y 0
		.amdhsa_system_sgpr_workgroup_id_z 0
		.amdhsa_system_sgpr_workgroup_info 0
		.amdhsa_system_vgpr_workitem_id 0
		.amdhsa_next_free_vgpr 3
		.amdhsa_next_free_sgpr 10
		.amdhsa_reserve_vcc 0
		.amdhsa_reserve_flat_scratch 0
		.amdhsa_float_round_mode_32 0
		.amdhsa_float_round_mode_16_64 0
		.amdhsa_float_denorm_mode_32 3
		.amdhsa_float_denorm_mode_16_64 3
		.amdhsa_dx10_clamp 1
		.amdhsa_ieee_mode 1
		.amdhsa_fp16_overflow 0
		.amdhsa_exception_fp_ieee_invalid_op 0
		.amdhsa_exception_fp_denorm_src 0
		.amdhsa_exception_fp_ieee_div_zero 0
		.amdhsa_exception_fp_ieee_overflow 0
		.amdhsa_exception_fp_ieee_underflow 0
		.amdhsa_exception_fp_ieee_inexact 0
		.amdhsa_exception_int_div_zero 0
	.end_amdhsa_kernel
	.text
.Lfunc_end0:
	.size	_Z18reduce_card_devicePii, .Lfunc_end0-_Z18reduce_card_devicePii
                                        ; -- End function
	.set _Z18reduce_card_devicePii.num_vgpr, 3
	.set _Z18reduce_card_devicePii.num_agpr, 0
	.set _Z18reduce_card_devicePii.numbered_sgpr, 10
	.set _Z18reduce_card_devicePii.num_named_barrier, 0
	.set _Z18reduce_card_devicePii.private_seg_size, 0
	.set _Z18reduce_card_devicePii.uses_vcc, 0
	.set _Z18reduce_card_devicePii.uses_flat_scratch, 0
	.set _Z18reduce_card_devicePii.has_dyn_sized_stack, 0
	.set _Z18reduce_card_devicePii.has_recursion, 0
	.set _Z18reduce_card_devicePii.has_indirect_call, 0
	.section	.AMDGPU.csdata,"",@progbits
; Kernel info:
; codeLenInByte = 148
; TotalNumSgprs: 14
; NumVgprs: 3
; ScratchSize: 0
; MemoryBound: 0
; FloatMode: 240
; IeeeMode: 1
; LDSByteSize: 0 bytes/workgroup (compile time only)
; SGPRBlocks: 1
; VGPRBlocks: 0
; NumSGPRsForWavesPerEU: 14
; NumVGPRsForWavesPerEU: 3
; Occupancy: 10
; WaveLimiterHint : 0
; COMPUTE_PGM_RSRC2:SCRATCH_EN: 0
; COMPUTE_PGM_RSRC2:USER_SGPR: 6
; COMPUTE_PGM_RSRC2:TRAP_HANDLER: 0
; COMPUTE_PGM_RSRC2:TGID_X_EN: 1
; COMPUTE_PGM_RSRC2:TGID_Y_EN: 0
; COMPUTE_PGM_RSRC2:TGID_Z_EN: 0
; COMPUTE_PGM_RSRC2:TIDIG_COMP_CNT: 0
	.text
	.protected	_Z15compute_degreesPiS_ii ; -- Begin function _Z15compute_degreesPiS_ii
	.globl	_Z15compute_degreesPiS_ii
	.p2align	8
	.type	_Z15compute_degreesPiS_ii,@function
_Z15compute_degreesPiS_ii:              ; @_Z15compute_degreesPiS_ii
; %bb.0:
	s_load_dword s7, s[4:5], 0x18
	s_load_dwordx2 s[2:3], s[4:5], 0x10
	s_add_u32 s0, s4, 24
	s_addc_u32 s1, s5, 0
	s_mov_b32 s8, 0
	s_waitcnt lgkmcnt(0)
	s_abs_i32 s9, s7
	v_cvt_f32_u32_e32 v1, s9
	s_sub_i32 s11, 0, s9
	s_add_i32 s10, s2, s7
	s_add_i32 s10, s10, -1
	v_rcp_iflag_f32_e32 v1, v1
	s_xor_b32 s7, s10, s7
	s_abs_i32 s10, s10
	s_ashr_i32 s7, s7, 31
	v_mul_f32_e32 v1, 0x4f7ffffe, v1
	v_cvt_u32_f32_e32 v1, v1
	v_readfirstlane_b32 s12, v1
	s_mul_i32 s11, s11, s12
	s_mul_hi_u32 s11, s12, s11
	s_add_i32 s12, s12, s11
	s_mul_hi_u32 s11, s10, s12
	s_mul_i32 s12, s11, s9
	s_sub_i32 s10, s10, s12
	s_add_i32 s13, s11, 1
	s_sub_i32 s12, s10, s9
	s_cmp_ge_u32 s10, s9
	s_cselect_b32 s11, s13, s11
	s_cselect_b32 s10, s12, s10
	s_add_i32 s12, s11, 1
	s_cmp_ge_u32 s10, s9
	s_cselect_b32 s9, s12, s11
	s_xor_b32 s9, s9, s7
	s_sub_i32 s7, s9, s7
	s_mul_i32 s6, s7, s6
	s_sub_i32 s10, s2, s6
	s_add_i32 s9, s6, s7
	s_max_i32 s10, s10, 0
	s_cmp_gt_i32 s9, s2
	s_cselect_b32 s2, s10, s7
	v_cmp_gt_i32_e32 vcc, s2, v0
	s_and_saveexec_b64 s[10:11], vcc
	s_cbranch_execz .LBB1_6
; %bb.1:
	s_load_dword s9, s[0:1], 0xc
	s_load_dwordx4 s[12:15], s[4:5], 0x0
	s_mul_i32 s0, s6, s3
	s_ashr_i32 s7, s6, 31
	s_ashr_i32 s1, s0, 31
	s_waitcnt lgkmcnt(0)
	s_and_b32 s9, s9, 0xffff
	s_lshl_b64 s[4:5], s[6:7], 2
	s_add_u32 s6, s14, s4
	s_addc_u32 s16, s15, s5
	s_cmp_gt_i32 s3, 0
	v_mul_lo_u32 v1, v0, s3
	s_cselect_b64 s[14:15], -1, 0
	s_lshl_b64 s[0:1], s[0:1], 2
	s_add_u32 s7, s12, s0
	v_cndmask_b32_e64 v2, 0, 1, s[14:15]
	s_addc_u32 s10, s13, s1
	s_mul_i32 s11, s3, s9
	s_mov_b64 s[4:5], 0
	v_cmp_ne_u32_e64 s[0:1], 1, v2
	v_mov_b32_e32 v3, 0
	v_mov_b32_e32 v6, s16
	s_branch .LBB1_3
.LBB1_2:                                ;   in Loop: Header=BB1_3 Depth=1
	v_add_u32_e32 v2, s8, v0
	v_lshlrev_b64 v[4:5], 2, v[2:3]
	s_add_i32 s8, s8, s9
	v_add_co_u32_e32 v4, vcc, s6, v4
	v_addc_co_u32_e32 v5, vcc, v6, v5, vcc
	v_add_u32_e32 v2, s8, v0
	v_cmp_le_i32_e32 vcc, s2, v2
	s_or_b64 s[4:5], vcc, s[4:5]
	v_add_u32_e32 v1, s11, v1
	global_store_dword v[4:5], v7, off
	s_andn2_b64 exec, exec, s[4:5]
	s_cbranch_execz .LBB1_6
.LBB1_3:                                ; =>This Loop Header: Depth=1
                                        ;     Child Loop BB1_5 Depth 2
	s_and_b64 vcc, exec, s[0:1]
	v_mov_b32_e32 v7, 0
	s_cbranch_vccnz .LBB1_2
; %bb.4:                                ;   in Loop: Header=BB1_3 Depth=1
	v_mov_b32_e32 v2, v3
	v_lshlrev_b64 v[4:5], 2, v[1:2]
	v_mov_b32_e32 v2, s10
	v_add_co_u32_e32 v4, vcc, s7, v4
	v_addc_co_u32_e32 v5, vcc, v2, v5, vcc
	v_mov_b32_e32 v7, 0
	s_mov_b32 s12, s3
.LBB1_5:                                ;   Parent Loop BB1_3 Depth=1
                                        ; =>  This Inner Loop Header: Depth=2
	global_load_dword v2, v[4:5], off
	s_add_i32 s12, s12, -1
	v_add_co_u32_e32 v4, vcc, 4, v4
	v_addc_co_u32_e32 v5, vcc, 0, v5, vcc
	s_cmp_eq_u32 s12, 0
	s_waitcnt vmcnt(0)
	v_not_b32_e32 v2, v2
	v_lshrrev_b32_e32 v2, 31, v2
	v_add_u32_e32 v7, v7, v2
	s_cbranch_scc0 .LBB1_5
	s_branch .LBB1_2
.LBB1_6:
	s_endpgm
	.section	.rodata,"a",@progbits
	.p2align	6, 0x0
	.amdhsa_kernel _Z15compute_degreesPiS_ii
		.amdhsa_group_segment_fixed_size 0
		.amdhsa_private_segment_fixed_size 0
		.amdhsa_kernarg_size 280
		.amdhsa_user_sgpr_count 6
		.amdhsa_user_sgpr_private_segment_buffer 1
		.amdhsa_user_sgpr_dispatch_ptr 0
		.amdhsa_user_sgpr_queue_ptr 0
		.amdhsa_user_sgpr_kernarg_segment_ptr 1
		.amdhsa_user_sgpr_dispatch_id 0
		.amdhsa_user_sgpr_flat_scratch_init 0
		.amdhsa_user_sgpr_private_segment_size 0
		.amdhsa_uses_dynamic_stack 0
		.amdhsa_system_sgpr_private_segment_wavefront_offset 0
		.amdhsa_system_sgpr_workgroup_id_x 1
		.amdhsa_system_sgpr_workgroup_id_y 0
		.amdhsa_system_sgpr_workgroup_id_z 0
		.amdhsa_system_sgpr_workgroup_info 0
		.amdhsa_system_vgpr_workitem_id 0
		.amdhsa_next_free_vgpr 8
		.amdhsa_next_free_sgpr 17
		.amdhsa_reserve_vcc 1
		.amdhsa_reserve_flat_scratch 0
		.amdhsa_float_round_mode_32 0
		.amdhsa_float_round_mode_16_64 0
		.amdhsa_float_denorm_mode_32 3
		.amdhsa_float_denorm_mode_16_64 3
		.amdhsa_dx10_clamp 1
		.amdhsa_ieee_mode 1
		.amdhsa_fp16_overflow 0
		.amdhsa_exception_fp_ieee_invalid_op 0
		.amdhsa_exception_fp_denorm_src 0
		.amdhsa_exception_fp_ieee_div_zero 0
		.amdhsa_exception_fp_ieee_overflow 0
		.amdhsa_exception_fp_ieee_underflow 0
		.amdhsa_exception_fp_ieee_inexact 0
		.amdhsa_exception_int_div_zero 0
	.end_amdhsa_kernel
	.text
.Lfunc_end1:
	.size	_Z15compute_degreesPiS_ii, .Lfunc_end1-_Z15compute_degreesPiS_ii
                                        ; -- End function
	.set _Z15compute_degreesPiS_ii.num_vgpr, 8
	.set _Z15compute_degreesPiS_ii.num_agpr, 0
	.set _Z15compute_degreesPiS_ii.numbered_sgpr, 17
	.set _Z15compute_degreesPiS_ii.num_named_barrier, 0
	.set _Z15compute_degreesPiS_ii.private_seg_size, 0
	.set _Z15compute_degreesPiS_ii.uses_vcc, 1
	.set _Z15compute_degreesPiS_ii.uses_flat_scratch, 0
	.set _Z15compute_degreesPiS_ii.has_dyn_sized_stack, 0
	.set _Z15compute_degreesPiS_ii.has_recursion, 0
	.set _Z15compute_degreesPiS_ii.has_indirect_call, 0
	.section	.AMDGPU.csdata,"",@progbits
; Kernel info:
; codeLenInByte = 452
; TotalNumSgprs: 21
; NumVgprs: 8
; ScratchSize: 0
; MemoryBound: 0
; FloatMode: 240
; IeeeMode: 1
; LDSByteSize: 0 bytes/workgroup (compile time only)
; SGPRBlocks: 2
; VGPRBlocks: 1
; NumSGPRsForWavesPerEU: 21
; NumVGPRsForWavesPerEU: 8
; Occupancy: 10
; WaveLimiterHint : 0
; COMPUTE_PGM_RSRC2:SCRATCH_EN: 0
; COMPUTE_PGM_RSRC2:USER_SGPR: 6
; COMPUTE_PGM_RSRC2:TRAP_HANDLER: 0
; COMPUTE_PGM_RSRC2:TGID_X_EN: 1
; COMPUTE_PGM_RSRC2:TGID_Y_EN: 0
; COMPUTE_PGM_RSRC2:TGID_Z_EN: 0
; COMPUTE_PGM_RSRC2:TIDIG_COMP_CNT: 0
	.text
	.protected	_Z26update_clustered_pnts_maskPcS_i ; -- Begin function _Z26update_clustered_pnts_maskPcS_i
	.globl	_Z26update_clustered_pnts_maskPcS_i
	.p2align	8
	.type	_Z26update_clustered_pnts_maskPcS_i,@function
_Z26update_clustered_pnts_maskPcS_i:    ; @_Z26update_clustered_pnts_maskPcS_i
; %bb.0:
	s_load_dword s8, s[4:5], 0x10
	s_waitcnt lgkmcnt(0)
	v_cmp_gt_i32_e32 vcc, s8, v0
	s_and_saveexec_b64 s[2:3], vcc
	s_cbranch_execz .LBB2_3
; %bb.1:
	s_load_dwordx2 s[0:1], s[4:5], 0x24
	s_load_dwordx4 s[12:15], s[4:5], 0x0
	s_mov_b64 s[6:7], 0
	s_waitcnt lgkmcnt(0)
	s_lshr_b32 s4, s0, 16
	s_and_b32 s0, s0, 0xffff
	v_mov_b32_e32 v2, s15
	v_add_co_u32_e32 v1, vcc, s14, v0
	s_and_b32 s1, s1, 0xffff
	s_mul_i32 s0, s4, s0
	v_addc_co_u32_e32 v2, vcc, 0, v2, vcc
	s_mul_i32 s9, s0, s1
	v_mov_b32_e32 v4, s13
	v_add_co_u32_e32 v3, vcc, s12, v0
	s_ashr_i32 s10, s9, 31
	v_addc_co_u32_e32 v4, vcc, 0, v4, vcc
	s_mov_b64 s[4:5], 0
.LBB2_2:                                ; =>This Inner Loop Header: Depth=1
	v_mov_b32_e32 v6, s7
	v_add_co_u32_e64 v7, s[0:1], s6, v1
	v_add_co_u32_e32 v5, vcc, s6, v3
	v_addc_co_u32_e64 v8, s[0:1], v2, v6, s[0:1]
	v_addc_co_u32_e32 v6, vcc, v4, v6, vcc
	global_load_ubyte v9, v[7:8], off
	global_load_ubyte v10, v[5:6], off
	s_add_u32 s6, s6, s9
	v_add_u32_e32 v7, s6, v0
	s_addc_u32 s7, s7, s10
	v_cmp_le_i32_e32 vcc, s8, v7
	s_or_b64 s[4:5], vcc, s[4:5]
	s_waitcnt vmcnt(0)
	v_or_b32_e32 v7, v10, v9
	global_store_byte v[5:6], v7, off
	s_andn2_b64 exec, exec, s[4:5]
	s_cbranch_execnz .LBB2_2
.LBB2_3:
	s_or_b64 exec, exec, s[2:3]
	s_waitcnt vmcnt(0)
	s_barrier
	s_endpgm
	.section	.rodata,"a",@progbits
	.p2align	6, 0x0
	.amdhsa_kernel _Z26update_clustered_pnts_maskPcS_i
		.amdhsa_group_segment_fixed_size 0
		.amdhsa_private_segment_fixed_size 0
		.amdhsa_kernarg_size 280
		.amdhsa_user_sgpr_count 6
		.amdhsa_user_sgpr_private_segment_buffer 1
		.amdhsa_user_sgpr_dispatch_ptr 0
		.amdhsa_user_sgpr_queue_ptr 0
		.amdhsa_user_sgpr_kernarg_segment_ptr 1
		.amdhsa_user_sgpr_dispatch_id 0
		.amdhsa_user_sgpr_flat_scratch_init 0
		.amdhsa_user_sgpr_private_segment_size 0
		.amdhsa_uses_dynamic_stack 0
		.amdhsa_system_sgpr_private_segment_wavefront_offset 0
		.amdhsa_system_sgpr_workgroup_id_x 1
		.amdhsa_system_sgpr_workgroup_id_y 0
		.amdhsa_system_sgpr_workgroup_id_z 0
		.amdhsa_system_sgpr_workgroup_info 0
		.amdhsa_system_vgpr_workitem_id 0
		.amdhsa_next_free_vgpr 11
		.amdhsa_next_free_sgpr 16
		.amdhsa_reserve_vcc 1
		.amdhsa_reserve_flat_scratch 0
		.amdhsa_float_round_mode_32 0
		.amdhsa_float_round_mode_16_64 0
		.amdhsa_float_denorm_mode_32 3
		.amdhsa_float_denorm_mode_16_64 3
		.amdhsa_dx10_clamp 1
		.amdhsa_ieee_mode 1
		.amdhsa_fp16_overflow 0
		.amdhsa_exception_fp_ieee_invalid_op 0
		.amdhsa_exception_fp_denorm_src 0
		.amdhsa_exception_fp_ieee_div_zero 0
		.amdhsa_exception_fp_ieee_overflow 0
		.amdhsa_exception_fp_ieee_underflow 0
		.amdhsa_exception_fp_ieee_inexact 0
		.amdhsa_exception_int_div_zero 0
	.end_amdhsa_kernel
	.text
.Lfunc_end2:
	.size	_Z26update_clustered_pnts_maskPcS_i, .Lfunc_end2-_Z26update_clustered_pnts_maskPcS_i
                                        ; -- End function
	.set _Z26update_clustered_pnts_maskPcS_i.num_vgpr, 11
	.set _Z26update_clustered_pnts_maskPcS_i.num_agpr, 0
	.set _Z26update_clustered_pnts_maskPcS_i.numbered_sgpr, 16
	.set _Z26update_clustered_pnts_maskPcS_i.num_named_barrier, 0
	.set _Z26update_clustered_pnts_maskPcS_i.private_seg_size, 0
	.set _Z26update_clustered_pnts_maskPcS_i.uses_vcc, 1
	.set _Z26update_clustered_pnts_maskPcS_i.uses_flat_scratch, 0
	.set _Z26update_clustered_pnts_maskPcS_i.has_dyn_sized_stack, 0
	.set _Z26update_clustered_pnts_maskPcS_i.has_recursion, 0
	.set _Z26update_clustered_pnts_maskPcS_i.has_indirect_call, 0
	.section	.AMDGPU.csdata,"",@progbits
; Kernel info:
; codeLenInByte = 212
; TotalNumSgprs: 20
; NumVgprs: 11
; ScratchSize: 0
; MemoryBound: 0
; FloatMode: 240
; IeeeMode: 1
; LDSByteSize: 0 bytes/workgroup (compile time only)
; SGPRBlocks: 2
; VGPRBlocks: 2
; NumSGPRsForWavesPerEU: 20
; NumVGPRsForWavesPerEU: 11
; Occupancy: 10
; WaveLimiterHint : 0
; COMPUTE_PGM_RSRC2:SCRATCH_EN: 0
; COMPUTE_PGM_RSRC2:USER_SGPR: 6
; COMPUTE_PGM_RSRC2:TRAP_HANDLER: 0
; COMPUTE_PGM_RSRC2:TGID_X_EN: 1
; COMPUTE_PGM_RSRC2:TGID_Y_EN: 0
; COMPUTE_PGM_RSRC2:TGID_Z_EN: 0
; COMPUTE_PGM_RSRC2:TIDIG_COMP_CNT: 0
	.text
	.p2align	2                               ; -- Begin function _Z42generate_candidate_cluster_compact_storageiiPcPfS_PiS0_iiiS1_f
	.type	_Z42generate_candidate_cluster_compact_storageiiPcPfS_PiS0_iiiS1_f,@function
_Z42generate_candidate_cluster_compact_storageiiPcPfS_PiS0_iiiS1_f: ; @_Z42generate_candidate_cluster_compact_storageiiPcPfS_PiS0_iiiS1_f
; %bb.0:
	s_waitcnt vmcnt(0) expcnt(0) lgkmcnt(0)
	s_or_saveexec_b64 s[4:5], -1
	buffer_store_dword v63, off, s[0:3], s32 offset:116 ; 4-byte Folded Spill
	s_mov_b64 exec, s[4:5]
	buffer_store_dword v40, off, s[0:3], s32 offset:56 ; 4-byte Folded Spill
	buffer_store_dword v41, off, s[0:3], s32 offset:52 ; 4-byte Folded Spill
	;; [unrolled: 1-line block ×14, first 2 shown]
	buffer_store_dword v62, off, s[0:3], s32 ; 4-byte Folded Spill
	v_writelane_b32 v63, s34, 0
	v_writelane_b32 v63, s35, 1
	;; [unrolled: 1-line block ×9, first 2 shown]
	s_load_dwordx2 s[4:5], s[8:9], 0x0
	s_load_dword s10, s[8:9], 0x8
	v_mov_b32_e32 v17, 0
	v_and_b32_e32 v55, 0x3ff, v31
	v_cmp_lt_i32_e32 vcc, v55, v12
	s_waitcnt lgkmcnt(0)
	s_cmp_lt_u32 s12, s4
	s_cselect_b32 s4, 12, 18
	s_add_u32 s6, s8, s4
	s_addc_u32 s7, s9, 0
	s_cmp_lt_u32 s13, s5
	s_cselect_b32 s4, 14, 20
	s_add_u32 s4, s8, s4
	s_addc_u32 s5, s9, 0
	s_cmp_lt_u32 s14, s10
	s_cselect_b32 s10, 16, 22
	s_add_u32 s8, s8, s10
	global_load_ushort v18, v17, s[6:7]
	global_load_ushort v19, v17, s[4:5]
	s_addc_u32 s9, s9, 0
	global_load_ushort v20, v17, s[8:9]
	s_waitcnt vmcnt(2)
	v_readfirstlane_b32 s4, v18
	s_waitcnt vmcnt(1)
	v_readfirstlane_b32 s5, v19
	s_mul_i32 s4, s5, s4
	s_waitcnt vmcnt(0)
	v_readfirstlane_b32 s5, v20
	s_mul_i32 s14, s4, s5
	s_and_saveexec_b64 s[12:13], vcc
	s_cbranch_execz .LBB3_8
; %bb.1:
	v_add_u32_e32 v18, s14, v55
	v_max_i32_e32 v19, v12, v18
	v_cmp_lt_i32_e32 vcc, v18, v12
	v_mov_b32_e32 v18, s14
	v_addc_co_u32_e64 v18, s[4:5], v55, v18, vcc
	v_sub_u32_e32 v18, v19, v18
	v_cvt_f32_u32_e32 v19, s14
	s_sub_i32 s4, 0, s14
	v_rcp_iflag_f32_e32 v19, v19
	v_mul_f32_e32 v19, 0x4f7ffffe, v19
	v_cvt_u32_f32_e32 v19, v19
	v_mul_lo_u32 v20, s4, v19
	v_mul_hi_u32 v20, v19, v20
	v_add_u32_e32 v19, v19, v20
	v_mul_hi_u32 v19, v18, v19
	v_mul_lo_u32 v20, v19, s14
	v_sub_u32_e32 v18, v18, v20
	v_cmp_le_u32_e64 s[4:5], s14, v18
	v_add_u32_e32 v20, 1, v19
	v_cndmask_b32_e64 v19, v19, v20, s[4:5]
	v_subrev_u32_e32 v20, s14, v18
	v_cndmask_b32_e64 v18, v18, v20, s[4:5]
	v_cmp_le_u32_e64 s[4:5], s14, v18
	v_add_u32_e32 v18, 1, v19
	v_cndmask_b32_e64 v18, v19, v18, s[4:5]
	v_addc_co_u32_e32 v18, vcc, 1, v18, vcc
	v_cmp_lt_u32_e32 vcc, 3, v18
	s_mov_b64 s[4:5], -1
	s_and_saveexec_b64 s[16:17], vcc
	s_cbranch_execz .LBB3_5
; %bb.2:
	v_and_b32_e32 v19, -4, v18
	s_lshl_b32 s23, s14, 2
	v_mov_b32_e32 v17, v55
	v_mov_b32_e32 v20, v55
	;; [unrolled: 1-line block ×3, first 2 shown]
	s_mul_i32 s15, s14, 3
	s_lshl_b32 s20, s14, 1
	s_mov_b32 s21, 0
	s_mov_b32 s22, s14
	;; [unrolled: 1-line block ×5, first 2 shown]
	s_mov_b64 s[18:19], 0
	v_mov_b32_e32 v22, 0
	v_mov_b32_e32 v23, v19
.LBB3_3:                                ; =>This Inner Loop Header: Depth=1
	v_add_u32_e32 v25, s21, v55
	v_add_u32_e32 v23, -4, v23
	v_add_u32_e32 v24, s22, v17
	v_add_u32_e32 v26, s20, v20
	;; [unrolled: 1-line block ×3, first 2 shown]
	s_add_i32 s15, s15, s26
	s_add_i32 s20, s20, s25
	;; [unrolled: 1-line block ×4, first 2 shown]
	v_ashrrev_i32_e32 v31, 31, v25
	v_cmp_eq_u32_e64 s[8:9], 0, v23
	v_add_co_u32_e64 v30, s[10:11], v1, v25
	v_ashrrev_i32_e32 v29, 31, v27
	v_ashrrev_i32_e32 v32, 31, v26
	;; [unrolled: 1-line block ×3, first 2 shown]
	v_add_co_u32_e32 v24, vcc, v1, v24
	v_add_co_u32_e64 v26, s[4:5], v1, v26
	v_add_co_u32_e64 v28, s[6:7], v1, v27
	v_addc_co_u32_e64 v31, s[10:11], v2, v31, s[10:11]
	s_or_b64 s[18:19], s[8:9], s[18:19]
	v_addc_co_u32_e32 v25, vcc, v2, v33, vcc
	v_addc_co_u32_e64 v27, vcc, v2, v32, s[4:5]
	v_addc_co_u32_e64 v29, vcc, v2, v29, s[6:7]
	flat_store_byte v[30:31], v22
	flat_store_byte v[24:25], v22
	;; [unrolled: 1-line block ×4, first 2 shown]
	s_andn2_b64 exec, exec, s[18:19]
	s_cbranch_execnz .LBB3_3
; %bb.4:
	s_or_b64 exec, exec, s[18:19]
	v_mul_lo_u32 v17, v19, s14
	v_cmp_ne_u32_e32 vcc, v18, v19
	s_orn2_b64 s[4:5], vcc, exec
.LBB3_5:
	s_or_b64 exec, exec, s[16:17]
	s_and_b64 exec, exec, s[4:5]
	s_cbranch_execz .LBB3_8
; %bb.6:
	v_add_co_u32_e32 v19, vcc, v1, v55
	s_ashr_i32 s6, s14, 31
	v_mov_b32_e32 v18, 0
	v_addc_co_u32_e32 v20, vcc, 0, v2, vcc
	v_ashrrev_i32_e32 v21, 31, v17
	s_mov_b64 s[4:5], 0
	v_mov_b32_e32 v22, s6
.LBB3_7:                                ; =>This Inner Loop Header: Depth=1
	v_add_co_u32_e32 v23, vcc, v19, v17
	v_addc_co_u32_e32 v24, vcc, v20, v21, vcc
	v_add_co_u32_e32 v17, vcc, s14, v17
	v_addc_co_u32_e32 v21, vcc, v21, v22, vcc
	v_add_u32_e32 v25, v55, v17
	v_cmp_ge_i32_e32 vcc, v25, v12
	s_or_b64 s[4:5], vcc, s[4:5]
	flat_store_byte v[23:24], v18
	s_andn2_b64 exec, exec, s[4:5]
	s_cbranch_execnz .LBB3_7
.LBB3_8:
	s_or_b64 exec, exec, s[12:13]
	v_cmp_lt_i32_e32 vcc, v55, v13
	v_lshlrev_b32_e32 v41, 2, v55
	s_and_saveexec_b64 s[8:9], vcc
	s_cbranch_execz .LBB3_11
; %bb.9:
	s_ashr_i32 s15, s14, 31
	v_add_co_u32_e64 v17, s[4:5], v9, v41
	s_lshl_b64 s[10:11], s[14:15], 2
	v_mov_b32_e32 v12, 0
	v_addc_co_u32_e64 v18, s[4:5], 0, v10, s[4:5]
	s_mov_b64 s[12:13], 0
	v_mov_b32_e32 v19, s11
	v_mov_b32_e32 v20, v55
.LBB3_10:                               ; =>This Inner Loop Header: Depth=1
	v_add_u32_e32 v20, s14, v20
	flat_store_dword v[17:18], v12
	v_add_co_u32_e64 v17, s[4:5], s10, v17
	v_cmp_ge_i32_e64 s[6:7], v20, v13
	s_or_b64 s[12:13], s[6:7], s[12:13]
	v_addc_co_u32_e64 v18, s[4:5], v18, v19, s[4:5]
	s_andn2_b64 exec, exec, s[12:13]
	s_cbranch_execnz .LBB3_10
.LBB3_11:
	s_or_b64 exec, exec, s[8:9]
	v_cmp_eq_u32_e64 s[4:5], 0, v55
	s_and_saveexec_b64 s[8:9], s[4:5]
	s_cbranch_execz .LBB3_15
; %bb.12:
	v_cmp_ne_u64_e64 s[6:7], 0, v[14:15]
	s_and_saveexec_b64 s[10:11], s[6:7]
	s_cbranch_execz .LBB3_14
; %bb.13:
	flat_store_dword v[14:15], v0
.LBB3_14:
	s_or_b64 exec, exec, s[10:11]
	v_ashrrev_i32_e32 v12, 31, v0
	v_add_co_u32_e64 v17, s[6:7], v1, v0
	v_addc_co_u32_e64 v18, s[6:7], v2, v12, s[6:7]
	v_mov_b32_e32 v12, 1
	flat_store_byte v[17:18], v12
.LBB3_15:
	s_or_b64 exec, exec, s[8:9]
	v_mul_lo_u32 v42, v13, v0
	v_mov_b32_e32 v30, -1
	s_mov_b64 s[8:9], 0
	v_mov_b32_e32 v23, -1
	s_waitcnt vmcnt(0) lgkmcnt(0)
	s_barrier
	s_and_saveexec_b64 s[6:7], vcc
	s_cbranch_execz .LBB3_17
; %bb.16:
	v_add_u32_e32 v17, v42, v55
	v_ashrrev_i32_e32 v18, 31, v17
	v_lshlrev_b64 v[17:18], 2, v[17:18]
	v_add_co_u32_e32 v17, vcc, v7, v17
	v_addc_co_u32_e32 v18, vcc, v8, v18, vcc
	flat_load_dword v23, v[17:18]
	s_waitcnt vmcnt(0) lgkmcnt(0)
	v_cmp_lt_i32_e32 vcc, -1, v23
	s_and_b64 s[8:9], vcc, exec
.LBB3_17:
	s_or_b64 exec, exec, s[6:7]
	v_mov_b32_e32 v29, -1
	v_mov_b32_e32 v35, -1
	;; [unrolled: 1-line block ×10, first 2 shown]
	s_and_saveexec_b64 s[6:7], s[8:9]
	s_cbranch_execz .LBB3_61
; %bb.18:
	v_add_u32_e32 v12, s14, v55
	v_cmp_lt_i32_e32 vcc, v12, v13
	v_mov_b32_e32 v29, -1
	s_mov_b64 s[10:11], 0
	v_mov_b32_e32 v30, -1
	s_and_saveexec_b64 s[8:9], vcc
	s_cbranch_execz .LBB3_20
; %bb.19:
	v_add_u32_e32 v17, v12, v42
	v_ashrrev_i32_e32 v18, 31, v17
	v_lshlrev_b64 v[17:18], 2, v[17:18]
	v_add_co_u32_e32 v17, vcc, v7, v17
	v_addc_co_u32_e32 v18, vcc, v8, v18, vcc
	flat_load_dword v30, v[17:18]
	s_waitcnt vmcnt(0) lgkmcnt(0)
	v_cmp_lt_i32_e32 vcc, -1, v30
	s_and_b64 s[10:11], vcc, exec
.LBB3_20:
	s_or_b64 exec, exec, s[8:9]
	v_mov_b32_e32 v35, -1
	v_mov_b32_e32 v31, -1
	;; [unrolled: 1-line block ×9, first 2 shown]
	s_and_saveexec_b64 s[8:9], s[10:11]
	s_cbranch_execz .LBB3_60
; %bb.21:
	v_add_u32_e32 v12, s14, v12
	v_cmp_lt_i32_e32 vcc, v12, v13
	v_mov_b32_e32 v35, -1
	s_mov_b64 s[12:13], 0
	v_mov_b32_e32 v29, -1
	s_and_saveexec_b64 s[10:11], vcc
	s_cbranch_execz .LBB3_23
; %bb.22:
	v_add_u32_e32 v17, v12, v42
	v_ashrrev_i32_e32 v18, 31, v17
	v_lshlrev_b64 v[17:18], 2, v[17:18]
	v_add_co_u32_e32 v17, vcc, v7, v17
	v_addc_co_u32_e32 v18, vcc, v8, v18, vcc
	flat_load_dword v29, v[17:18]
	s_waitcnt vmcnt(0) lgkmcnt(0)
	v_cmp_lt_i32_e32 vcc, -1, v29
	s_and_b64 s[12:13], vcc, exec
.LBB3_23:
	s_or_b64 exec, exec, s[10:11]
	v_mov_b32_e32 v31, -1
	v_mov_b32_e32 v34, -1
	;; [unrolled: 1-line block ×8, first 2 shown]
	s_and_saveexec_b64 s[10:11], s[12:13]
	s_cbranch_execz .LBB3_59
; %bb.24:
	v_add_u32_e32 v12, s14, v12
	v_cmp_lt_i32_e32 vcc, v12, v13
	v_mov_b32_e32 v31, -1
	s_mov_b64 s[16:17], 0
	v_mov_b32_e32 v35, -1
	s_and_saveexec_b64 s[12:13], vcc
	s_cbranch_execz .LBB3_26
; %bb.25:
	v_add_u32_e32 v17, v12, v42
	v_ashrrev_i32_e32 v18, 31, v17
	v_lshlrev_b64 v[17:18], 2, v[17:18]
	v_add_co_u32_e32 v17, vcc, v7, v17
	v_addc_co_u32_e32 v18, vcc, v8, v18, vcc
	flat_load_dword v35, v[17:18]
	s_waitcnt vmcnt(0) lgkmcnt(0)
	v_cmp_lt_i32_e32 vcc, -1, v35
	s_and_b64 s[16:17], vcc, exec
.LBB3_26:
	s_or_b64 exec, exec, s[12:13]
	v_mov_b32_e32 v34, -1
	v_mov_b32_e32 v61, -1
	;; [unrolled: 1-line block ×7, first 2 shown]
	s_and_saveexec_b64 s[12:13], s[16:17]
	s_cbranch_execz .LBB3_58
; %bb.27:
	v_add_u32_e32 v12, s14, v12
	v_cmp_lt_i32_e32 vcc, v12, v13
	v_mov_b32_e32 v34, -1
	s_mov_b64 s[18:19], 0
	v_mov_b32_e32 v31, -1
	s_and_saveexec_b64 s[16:17], vcc
	s_cbranch_execz .LBB3_29
; %bb.28:
	v_add_u32_e32 v17, v12, v42
	v_ashrrev_i32_e32 v18, 31, v17
	v_lshlrev_b64 v[17:18], 2, v[17:18]
	v_add_co_u32_e32 v17, vcc, v7, v17
	v_addc_co_u32_e32 v18, vcc, v8, v18, vcc
	flat_load_dword v31, v[17:18]
	s_waitcnt vmcnt(0) lgkmcnt(0)
	v_cmp_lt_i32_e32 vcc, -1, v31
	s_and_b64 s[18:19], vcc, exec
.LBB3_29:
	s_or_b64 exec, exec, s[16:17]
	v_mov_b32_e32 v61, -1
	v_mov_b32_e32 v60, -1
	;; [unrolled: 1-line block ×6, first 2 shown]
	s_and_saveexec_b64 s[16:17], s[18:19]
	s_cbranch_execz .LBB3_57
; %bb.30:
	v_add_u32_e32 v12, s14, v12
	v_cmp_lt_i32_e32 vcc, v12, v13
	v_mov_b32_e32 v61, -1
	s_mov_b64 s[20:21], 0
	v_mov_b32_e32 v34, -1
	s_and_saveexec_b64 s[18:19], vcc
	s_cbranch_execz .LBB3_32
; %bb.31:
	v_add_u32_e32 v17, v12, v42
	v_ashrrev_i32_e32 v18, 31, v17
	v_lshlrev_b64 v[17:18], 2, v[17:18]
	v_add_co_u32_e32 v17, vcc, v7, v17
	v_addc_co_u32_e32 v18, vcc, v8, v18, vcc
	flat_load_dword v34, v[17:18]
	s_waitcnt vmcnt(0) lgkmcnt(0)
	v_cmp_lt_i32_e32 vcc, -1, v34
	s_and_b64 s[20:21], vcc, exec
.LBB3_32:
	s_or_b64 exec, exec, s[18:19]
	v_mov_b32_e32 v60, -1
	v_mov_b32_e32 v59, -1
	;; [unrolled: 1-line block ×5, first 2 shown]
	s_and_saveexec_b64 s[18:19], s[20:21]
	s_cbranch_execz .LBB3_56
; %bb.33:
	v_add_u32_e32 v12, s14, v12
	v_cmp_lt_i32_e32 vcc, v12, v13
	v_mov_b32_e32 v60, -1
	s_mov_b64 s[22:23], 0
	v_mov_b32_e32 v61, -1
	s_and_saveexec_b64 s[20:21], vcc
	s_cbranch_execz .LBB3_35
; %bb.34:
	v_add_u32_e32 v17, v12, v42
	v_ashrrev_i32_e32 v18, 31, v17
	v_lshlrev_b64 v[17:18], 2, v[17:18]
	v_add_co_u32_e32 v17, vcc, v7, v17
	v_addc_co_u32_e32 v18, vcc, v8, v18, vcc
	flat_load_dword v61, v[17:18]
	s_waitcnt vmcnt(0) lgkmcnt(0)
	v_cmp_lt_i32_e32 vcc, -1, v61
	s_and_b64 s[22:23], vcc, exec
.LBB3_35:
	s_or_b64 exec, exec, s[20:21]
	v_mov_b32_e32 v59, -1
	v_mov_b32_e32 v57, -1
	;; [unrolled: 1-line block ×4, first 2 shown]
	s_and_saveexec_b64 s[20:21], s[22:23]
	s_cbranch_execz .LBB3_55
; %bb.36:
	v_add_u32_e32 v12, s14, v12
	v_cmp_lt_i32_e32 vcc, v12, v13
	v_mov_b32_e32 v59, -1
	s_mov_b64 s[24:25], 0
	v_mov_b32_e32 v60, -1
	s_and_saveexec_b64 s[22:23], vcc
	s_cbranch_execz .LBB3_38
; %bb.37:
	v_add_u32_e32 v17, v12, v42
	v_ashrrev_i32_e32 v18, 31, v17
	v_lshlrev_b64 v[17:18], 2, v[17:18]
	v_add_co_u32_e32 v17, vcc, v7, v17
	v_addc_co_u32_e32 v18, vcc, v8, v18, vcc
	flat_load_dword v60, v[17:18]
	s_waitcnt vmcnt(0) lgkmcnt(0)
	v_cmp_lt_i32_e32 vcc, -1, v60
	s_and_b64 s[24:25], vcc, exec
.LBB3_38:
	s_or_b64 exec, exec, s[22:23]
	v_mov_b32_e32 v57, -1
	v_mov_b32_e32 v44, -1
	;; [unrolled: 1-line block ×3, first 2 shown]
	s_and_saveexec_b64 s[22:23], s[24:25]
	s_cbranch_execz .LBB3_54
; %bb.39:
	v_add_u32_e32 v12, s14, v12
	v_cmp_lt_i32_e32 vcc, v12, v13
	v_mov_b32_e32 v57, -1
	s_mov_b64 s[26:27], 0
	v_mov_b32_e32 v59, -1
	s_and_saveexec_b64 s[24:25], vcc
	s_cbranch_execz .LBB3_41
; %bb.40:
	v_add_u32_e32 v17, v12, v42
	v_ashrrev_i32_e32 v18, 31, v17
	v_lshlrev_b64 v[17:18], 2, v[17:18]
	v_add_co_u32_e32 v17, vcc, v7, v17
	v_addc_co_u32_e32 v18, vcc, v8, v18, vcc
	flat_load_dword v59, v[17:18]
	s_waitcnt vmcnt(0) lgkmcnt(0)
	v_cmp_lt_i32_e32 vcc, -1, v59
	s_and_b64 s[26:27], vcc, exec
.LBB3_41:
	s_or_b64 exec, exec, s[24:25]
	v_mov_b32_e32 v44, -1
	v_mov_b32_e32 v43, -1
	s_and_saveexec_b64 s[24:25], s[26:27]
	s_cbranch_execz .LBB3_53
; %bb.42:
	v_add_u32_e32 v12, s14, v12
	v_cmp_lt_i32_e32 vcc, v12, v13
	v_mov_b32_e32 v44, -1
	s_mov_b64 s[28:29], 0
	v_mov_b32_e32 v57, -1
	s_and_saveexec_b64 s[26:27], vcc
	s_cbranch_execz .LBB3_44
; %bb.43:
	v_add_u32_e32 v17, v12, v42
	v_ashrrev_i32_e32 v18, 31, v17
	v_lshlrev_b64 v[17:18], 2, v[17:18]
	v_add_co_u32_e32 v17, vcc, v7, v17
	v_addc_co_u32_e32 v18, vcc, v8, v18, vcc
	flat_load_dword v57, v[17:18]
	s_waitcnt vmcnt(0) lgkmcnt(0)
	v_cmp_lt_i32_e32 vcc, -1, v57
	s_and_b64 s[28:29], vcc, exec
.LBB3_44:
	s_or_b64 exec, exec, s[26:27]
	v_mov_b32_e32 v43, -1
	s_and_saveexec_b64 s[26:27], s[28:29]
	s_cbranch_execz .LBB3_52
; %bb.45:
	v_add_u32_e32 v12, s14, v12
	v_cmp_lt_i32_e32 vcc, v12, v13
	v_mov_b32_e32 v43, -1
	s_mov_b64 s[40:41], 0
	v_mov_b32_e32 v44, -1
	s_and_saveexec_b64 s[28:29], vcc
	s_cbranch_execz .LBB3_47
; %bb.46:
	v_add_u32_e32 v17, v12, v42
	v_ashrrev_i32_e32 v18, 31, v17
	v_lshlrev_b64 v[17:18], 2, v[17:18]
	v_add_co_u32_e32 v17, vcc, v7, v17
	v_addc_co_u32_e32 v18, vcc, v8, v18, vcc
	flat_load_dword v44, v[17:18]
	s_waitcnt vmcnt(0) lgkmcnt(0)
	v_cmp_lt_i32_e32 vcc, -1, v44
	s_and_b64 s[40:41], vcc, exec
.LBB3_47:
	s_or_b64 exec, exec, s[28:29]
	s_and_saveexec_b64 s[28:29], s[40:41]
	s_cbranch_execz .LBB3_51
; %bb.48:
	v_add_u32_e32 v12, s14, v12
	v_cmp_lt_i32_e32 vcc, v12, v13
	v_mov_b32_e32 v43, -1
	s_and_saveexec_b64 s[40:41], vcc
	s_cbranch_execz .LBB3_50
; %bb.49:
	v_add_u32_e32 v17, v12, v42
	v_ashrrev_i32_e32 v18, 31, v17
	v_lshlrev_b64 v[17:18], 2, v[17:18]
	v_add_co_u32_e32 v17, vcc, v7, v17
	v_addc_co_u32_e32 v18, vcc, v8, v18, vcc
	flat_load_dword v43, v[17:18]
.LBB3_50:
	s_or_b64 exec, exec, s[40:41]
.LBB3_51:
	s_or_b64 exec, exec, s[28:29]
.LBB3_52:
	s_or_b64 exec, exec, s[26:27]
.LBB3_53:
	s_or_b64 exec, exec, s[24:25]
.LBB3_54:
	s_or_b64 exec, exec, s[22:23]
.LBB3_55:
	s_or_b64 exec, exec, s[20:21]
.LBB3_56:
	s_or_b64 exec, exec, s[18:19]
.LBB3_57:
	s_or_b64 exec, exec, s[16:17]
.LBB3_58:
	s_or_b64 exec, exec, s[12:13]
.LBB3_59:
	s_or_b64 exec, exec, s[10:11]
.LBB3_60:
	s_or_b64 exec, exec, s[8:9]
.LBB3_61:
	s_or_b64 exec, exec, s[6:7]
	v_mov_b32_e32 v12, 1
	v_cmp_lt_i32_e32 vcc, 1, v11
	s_waitcnt vmcnt(0) lgkmcnt(0)
	s_barrier
	s_and_saveexec_b64 s[16:17], vcc
	s_cbranch_execz .LBB3_385
; %bb.62:
	s_add_i32 s6, s14, s14
	v_add_u32_e32 v19, s6, v55
	v_ashrrev_i32_e32 v20, 31, v19
	v_lshlrev_b64 v[17:18], 2, v[19:20]
	v_add_u32_e32 v21, s14, v19
	v_ashrrev_i32_e32 v22, 31, v21
	v_add_co_u32_e32 v17, vcc, v9, v17
	v_lshlrev_b64 v[19:20], 2, v[21:22]
	v_add_u32_e32 v24, s14, v21
	v_addc_co_u32_e32 v18, vcc, v10, v18, vcc
	v_ashrrev_i32_e32 v25, 31, v24
	v_add_co_u32_e32 v19, vcc, v9, v19
	v_lshlrev_b64 v[21:22], 2, v[24:25]
	v_add_u32_e32 v24, s14, v24
	v_addc_co_u32_e32 v20, vcc, v10, v20, vcc
	v_ashrrev_i32_e32 v25, 31, v24
	v_add_co_u32_e32 v21, vcc, v9, v21
	v_lshlrev_b64 v[25:26], 2, v[24:25]
	v_addc_co_u32_e32 v22, vcc, v10, v22, vcc
	v_add_co_u32_e32 v25, vcc, v9, v25
	v_addc_co_u32_e32 v26, vcc, v10, v26, vcc
	buffer_store_dword v25, off, s[0:3], s32 offset:60 ; 4-byte Folded Spill
	s_nop 0
	buffer_store_dword v26, off, s[0:3], s32 offset:64 ; 4-byte Folded Spill
	v_add_u32_e32 v24, s14, v24
	v_ashrrev_i32_e32 v25, 31, v24
	v_lshlrev_b64 v[25:26], 2, v[24:25]
	v_add_u32_e32 v24, s14, v24
	v_add_co_u32_e32 v25, vcc, v9, v25
	v_addc_co_u32_e32 v26, vcc, v10, v26, vcc
	buffer_store_dword v25, off, s[0:3], s32 offset:68 ; 4-byte Folded Spill
	s_nop 0
	buffer_store_dword v26, off, s[0:3], s32 offset:72 ; 4-byte Folded Spill
	v_ashrrev_i32_e32 v25, 31, v24
	v_lshlrev_b64 v[25:26], 2, v[24:25]
	v_add_u32_e32 v24, s14, v24
	v_add_co_u32_e32 v25, vcc, v9, v25
	v_addc_co_u32_e32 v26, vcc, v10, v26, vcc
	buffer_store_dword v25, off, s[0:3], s32 offset:76 ; 4-byte Folded Spill
	s_nop 0
	buffer_store_dword v26, off, s[0:3], s32 offset:80 ; 4-byte Folded Spill
	v_ashrrev_i32_e32 v25, 31, v24
	v_lshlrev_b64 v[25:26], 2, v[24:25]
	v_add_u32_e32 v24, s14, v24
	v_add_co_u32_e32 v25, vcc, v9, v25
	v_addc_co_u32_e32 v26, vcc, v10, v26, vcc
	buffer_store_dword v25, off, s[0:3], s32 offset:84 ; 4-byte Folded Spill
	s_nop 0
	buffer_store_dword v26, off, s[0:3], s32 offset:88 ; 4-byte Folded Spill
	v_ashrrev_i32_e32 v25, 31, v24
	v_lshlrev_b64 v[25:26], 2, v[24:25]
	v_add_u32_e32 v24, s14, v24
	v_add_co_u32_e32 v25, vcc, v9, v25
	v_addc_co_u32_e32 v26, vcc, v10, v26, vcc
	buffer_store_dword v25, off, s[0:3], s32 offset:92 ; 4-byte Folded Spill
	s_nop 0
	buffer_store_dword v26, off, s[0:3], s32 offset:96 ; 4-byte Folded Spill
	v_ashrrev_i32_e32 v25, 31, v24
	v_lshlrev_b64 v[25:26], 2, v[24:25]
	v_add_u32_e32 v24, s14, v24
	v_add_co_u32_e32 v25, vcc, v9, v25
	v_addc_co_u32_e32 v26, vcc, v10, v26, vcc
	buffer_store_dword v25, off, s[0:3], s32 offset:100 ; 4-byte Folded Spill
	s_nop 0
	buffer_store_dword v26, off, s[0:3], s32 offset:104 ; 4-byte Folded Spill
	v_ashrrev_i32_e32 v25, 31, v24
	s_ashr_i32 s15, s14, 31
	v_lshlrev_b64 v[25:26], 2, v[24:25]
	s_lshl_b64 s[6:7], s[14:15], 2
	s_cmp_gt_i32 s14, 1
	v_add_co_u32_e32 v25, vcc, v9, v25
	s_cselect_b64 s[22:23], -1, 0
	s_add_i32 s12, s14, -1
	v_addc_co_u32_e32 v26, vcc, v10, v26, vcc
	s_add_i32 s13, s14, -2
	s_and_b32 s15, s12, 3
	v_add_co_u32_e32 v37, vcc, v9, v41
	s_cmp_gt_u32 s13, 2
	v_addc_co_u32_e32 v38, vcc, 0, v10, vcc
	s_cselect_b64 s[24:25], -1, 0
	s_and_b32 s36, s12, -4
	buffer_store_dword v25, off, s[0:3], s32 offset:108 ; 4-byte Folded Spill
	s_nop 0
	buffer_store_dword v26, off, s[0:3], s32 offset:112 ; 4-byte Folded Spill
	v_mov_b32_e32 v12, s7
	v_add_co_u32_e32 v48, vcc, s6, v37
	v_add_u32_e32 v45, s14, v24
	v_cmp_ne_u64_e64 s[10:11], 0, v[14:15]
	s_cmp_lg_u32 s15, 0
	v_addc_co_u32_e32 v49, vcc, v38, v12, vcc
	v_cmp_lt_i32_e64 s[6:7], 0, v13
	v_cmp_lt_i32_e64 s[8:9], v45, v13
	s_mov_b32 s18, 1
	s_mov_b64 s[20:21], 0
	s_cselect_b64 s[26:27], -1, 0
	v_mul_f32_e32 v46, 0x40400000, v16
	v_mov_b32_e32 v47, 0
	v_add_f32_e32 v25, 1.0, v16
	v_mov_b32_e32 v58, v0
	s_branch .LBB3_65
.LBB3_63:                               ;   in Loop: Header=BB3_65 Depth=1
	s_or_b64 exec, exec, s[28:29]
	s_add_i32 s18, s18, 1
.LBB3_64:                               ;   in Loop: Header=BB3_65 Depth=1
	v_cmp_ge_i32_e32 vcc, s18, v11
	s_xor_b64 s[12:13], s[12:13], -1
	s_or_b64 s[12:13], vcc, s[12:13]
	s_and_b64 s[12:13], exec, s[12:13]
	s_or_b64 s[20:21], s[12:13], s[20:21]
	v_mov_b32_e32 v12, s18
	v_mov_b32_e32 v58, v26
	s_waitcnt vmcnt(0) lgkmcnt(0)
	s_barrier
	s_andn2_b64 exec, exec, s[20:21]
	s_cbranch_execz .LBB3_384
.LBB3_65:                               ; =>This Loop Header: Depth=1
                                        ;     Child Loop BB3_74 Depth 2
                                        ;     Child Loop BB3_93 Depth 2
	;; [unrolled: 1-line block ×13, first 2 shown]
                                        ;       Child Loop BB3_320 Depth 3
                                        ;     Child Loop BB3_331 Depth 2
                                        ;     Child Loop BB3_369 Depth 2
	v_mul_lo_u32 v50, v58, v13
	v_cmp_lt_i32_e32 vcc, -1, v23
	v_mov_b32_e32 v62, -1
	v_mov_b32_e32 v12, v46
	v_mov_b32_e32 v36, 0
	s_and_saveexec_b64 s[28:29], vcc
	s_cbranch_execz .LBB3_303
; %bb.66:                               ;   in Loop: Header=BB3_65 Depth=1
	v_cmp_ne_u32_e32 vcc, v23, v0
	v_mov_b32_e32 v62, -1
	v_mov_b32_e32 v36, 0
	v_mov_b32_e32 v12, v46
	;; [unrolled: 1-line block ×3, first 2 shown]
	s_and_saveexec_b64 s[12:13], vcc
	s_cbranch_execz .LBB3_84
; %bb.67:                               ;   in Loop: Header=BB3_65 Depth=1
	flat_load_dword v27, v[37:38]
	v_mov_b32_e32 v36, 0
	v_mov_b32_e32 v62, -1
	v_mov_b32_e32 v32, v0
	v_mov_b32_e32 v12, v46
	s_waitcnt vmcnt(0) lgkmcnt(0)
	v_cmp_ngt_f32_e32 vcc, v27, v16
	s_and_saveexec_b64 s[40:41], vcc
	s_cbranch_execz .LBB3_83
; %bb.68:                               ;   in Loop: Header=BB3_65 Depth=1
	v_add_co_u32_e32 v32, vcc, v1, v23
	v_addc_co_u32_e32 v33, vcc, 0, v2, vcc
	flat_load_ubyte v12, v[32:33]
	v_mov_b32_e32 v36, 0
	v_mov_b32_e32 v62, -1
	v_mov_b32_e32 v32, v0
	s_waitcnt vmcnt(0) lgkmcnt(0)
	v_cmp_eq_u16_e32 vcc, 0, v12
	v_mov_b32_e32 v12, v46
	s_and_saveexec_b64 s[42:43], vcc
	s_cbranch_execz .LBB3_82
; %bb.69:                               ;   in Loop: Header=BB3_65 Depth=1
	v_add_co_u32_e32 v32, vcc, v5, v23
	v_addc_co_u32_e32 v33, vcc, 0, v6, vcc
	flat_load_ubyte v12, v[32:33]
	v_mov_b32_e32 v36, 0
	v_mov_b32_e32 v62, -1
	v_mov_b32_e32 v32, v0
	s_waitcnt vmcnt(0) lgkmcnt(0)
	v_cmp_eq_u16_e32 vcc, 0, v12
	v_mov_b32_e32 v12, v46
	s_and_saveexec_b64 s[44:45], vcc
	s_cbranch_execz .LBB3_81
; %bb.70:                               ;   in Loop: Header=BB3_65 Depth=1
	v_mov_b32_e32 v36, 0
	v_mov_b32_e32 v12, v25
	s_and_saveexec_b64 s[46:47], s[6:7]
	s_cbranch_execz .LBB3_78
; %bb.71:                               ;   in Loop: Header=BB3_65 Depth=1
	v_ashrrev_i32_e32 v51, 31, v50
	v_lshlrev_b64 v[32:33], 2, v[50:51]
	v_mov_b32_e32 v26, 0
	v_add_co_u32_e32 v51, vcc, v3, v32
	v_addc_co_u32_e32 v52, vcc, v4, v33, vcc
	v_add_co_u32_e32 v53, vcc, v7, v32
	v_addc_co_u32_e32 v54, vcc, v8, v33, vcc
	s_mov_b32 s19, 1
	s_mov_b64 s[56:57], 0
	v_mov_b32_e32 v12, v25
                                        ; implicit-def: $sgpr58_sgpr59
	s_branch .LBB3_74
.LBB3_72:                               ;   in Loop: Header=BB3_74 Depth=2
	s_or_b64 exec, exec, s[72:73]
	s_andn2_b64 s[58:59], s[58:59], exec
	s_and_b64 s[62:63], s[62:63], exec
	s_or_b64 s[58:59], s[58:59], s[62:63]
	v_mov_b32_e32 v36, v26
.LBB3_73:                               ;   in Loop: Header=BB3_74 Depth=2
	s_or_b64 exec, exec, s[60:61]
	v_cmp_ge_i32_e32 vcc, s19, v13
	s_xor_b64 s[60:61], s[58:59], -1
	s_or_b64 s[60:61], s[60:61], vcc
	v_add_co_u32_e32 v51, vcc, 4, v51
	s_add_i32 s19, s19, 1
	v_addc_co_u32_e32 v52, vcc, 0, v52, vcc
	v_add_co_u32_e32 v53, vcc, 4, v53
	s_and_b64 s[60:61], exec, s[60:61]
	v_addc_co_u32_e32 v54, vcc, 0, v54, vcc
	s_or_b64 s[56:57], s[60:61], s[56:57]
	v_mov_b32_e32 v26, v36
	s_andn2_b64 exec, exec, s[56:57]
	s_cbranch_execz .LBB3_77
.LBB3_74:                               ;   Parent Loop BB3_65 Depth=1
                                        ; =>  This Inner Loop Header: Depth=2
	flat_load_dword v24, v[53:54]
	s_add_i32 s60, s19, -1
	v_mov_b32_e32 v36, s60
	s_andn2_b64 s[58:59], s[58:59], exec
	s_waitcnt vmcnt(0) lgkmcnt(0)
	v_cmp_le_u32_e32 vcc, v24, v23
	s_and_saveexec_b64 s[60:61], vcc
	s_cbranch_execz .LBB3_73
; %bb.75:                               ;   in Loop: Header=BB3_74 Depth=2
	v_cmp_eq_u32_e32 vcc, v24, v23
	s_mov_b64 s[62:63], -1
	s_and_saveexec_b64 s[72:73], vcc
	s_cbranch_execz .LBB3_72
; %bb.76:                               ;   in Loop: Header=BB3_74 Depth=2
	flat_load_dword v12, v[51:52]
	s_xor_b64 s[62:63], exec, -1
	s_branch .LBB3_72
.LBB3_77:                               ;   in Loop: Header=BB3_65 Depth=1
	s_or_b64 exec, exec, s[56:57]
.LBB3_78:                               ;   in Loop: Header=BB3_65 Depth=1
	s_or_b64 exec, exec, s[46:47]
	s_waitcnt vmcnt(0) lgkmcnt(0)
	v_cmp_gt_f32_e32 vcc, v12, v27
	s_and_saveexec_b64 s[46:47], vcc
	s_cbranch_execz .LBB3_80
; %bb.79:                               ;   in Loop: Header=BB3_65 Depth=1
	v_mov_b32_e32 v27, v12
	flat_store_dword v[37:38], v12
.LBB3_80:                               ;   in Loop: Header=BB3_65 Depth=1
	s_or_b64 exec, exec, s[46:47]
	v_cmp_lt_f32_e32 vcc, v27, v46
	v_cndmask_b32_e32 v12, v46, v27, vcc
	v_cndmask_b32_e32 v62, -1, v23, vcc
	v_mov_b32_e32 v32, v23
.LBB3_81:                               ;   in Loop: Header=BB3_65 Depth=1
	s_or_b64 exec, exec, s[44:45]
.LBB3_82:                               ;   in Loop: Header=BB3_65 Depth=1
	s_or_b64 exec, exec, s[42:43]
.LBB3_83:                               ;   in Loop: Header=BB3_65 Depth=1
	s_or_b64 exec, exec, s[40:41]
.LBB3_84:                               ;   in Loop: Header=BB3_65 Depth=1
	s_or_b64 exec, exec, s[12:13]
	v_cmp_lt_i32_e32 vcc, -1, v30
	s_and_saveexec_b64 s[40:41], vcc
	s_cbranch_execz .LBB3_302
; %bb.85:                               ;   in Loop: Header=BB3_65 Depth=1
	v_cmp_ne_u32_e32 vcc, v30, v0
	v_mov_b32_e32 v33, v0
	s_and_saveexec_b64 s[12:13], vcc
	s_cbranch_execz .LBB3_103
; %bb.86:                               ;   in Loop: Header=BB3_65 Depth=1
	flat_load_dword v27, v[48:49]
	v_mov_b32_e32 v33, v0
	s_waitcnt vmcnt(0) lgkmcnt(0)
	v_cmp_ngt_f32_e32 vcc, v27, v16
	s_and_saveexec_b64 s[42:43], vcc
	s_cbranch_execz .LBB3_102
; %bb.87:                               ;   in Loop: Header=BB3_65 Depth=1
	v_add_co_u32_e32 v23, vcc, v1, v30
	v_addc_co_u32_e32 v24, vcc, 0, v2, vcc
	flat_load_ubyte v23, v[23:24]
	v_mov_b32_e32 v33, v0
	s_waitcnt vmcnt(0) lgkmcnt(0)
	v_cmp_eq_u16_e32 vcc, 0, v23
	s_and_saveexec_b64 s[44:45], vcc
	s_cbranch_execz .LBB3_101
; %bb.88:                               ;   in Loop: Header=BB3_65 Depth=1
	v_add_co_u32_e32 v23, vcc, v5, v30
	v_addc_co_u32_e32 v24, vcc, 0, v6, vcc
	flat_load_ubyte v23, v[23:24]
	v_mov_b32_e32 v33, v0
	s_waitcnt vmcnt(0) lgkmcnt(0)
	v_cmp_eq_u16_e32 vcc, 0, v23
	s_and_saveexec_b64 s[46:47], vcc
	s_cbranch_execz .LBB3_100
; %bb.89:                               ;   in Loop: Header=BB3_65 Depth=1
	v_cmp_lt_i32_e32 vcc, v36, v13
	v_mov_b32_e32 v28, v25
	s_and_saveexec_b64 s[56:57], vcc
	s_cbranch_execz .LBB3_97
; %bb.90:                               ;   in Loop: Header=BB3_65 Depth=1
	v_add_u32_e32 v23, v36, v50
	v_ashrrev_i32_e32 v24, 31, v23
	v_lshlrev_b64 v[23:24], 2, v[23:24]
	s_mov_b64 s[58:59], 0
	v_add_co_u32_e32 v51, vcc, v3, v23
	v_addc_co_u32_e32 v52, vcc, v4, v24, vcc
	v_add_co_u32_e32 v53, vcc, v7, v23
	v_addc_co_u32_e32 v54, vcc, v8, v24, vcc
	v_mov_b32_e32 v28, v25
	v_mov_b32_e32 v26, v36
                                        ; implicit-def: $sgpr60_sgpr61
	s_branch .LBB3_93
.LBB3_91:                               ;   in Loop: Header=BB3_93 Depth=2
	s_or_b64 exec, exec, s[74:75]
	s_andn2_b64 s[60:61], s[60:61], exec
	s_and_b64 s[72:73], s[72:73], exec
	s_or_b64 s[60:61], s[60:61], s[72:73]
	v_mov_b32_e32 v23, v36
.LBB3_92:                               ;   in Loop: Header=BB3_93 Depth=2
	s_or_b64 exec, exec, s[62:63]
	v_add_u32_e32 v26, 1, v26
	v_cmp_ge_i32_e32 vcc, v26, v13
	s_xor_b64 s[62:63], s[60:61], -1
	s_or_b64 s[62:63], s[62:63], vcc
	v_add_co_u32_e32 v51, vcc, 4, v51
	v_addc_co_u32_e32 v52, vcc, 0, v52, vcc
	v_add_co_u32_e32 v53, vcc, 4, v53
	s_and_b64 s[62:63], exec, s[62:63]
	v_addc_co_u32_e32 v54, vcc, 0, v54, vcc
	s_or_b64 s[58:59], s[62:63], s[58:59]
	v_mov_b32_e32 v36, v23
	s_andn2_b64 exec, exec, s[58:59]
	s_cbranch_execz .LBB3_96
.LBB3_93:                               ;   Parent Loop BB3_65 Depth=1
                                        ; =>  This Inner Loop Header: Depth=2
	flat_load_dword v24, v[53:54]
	s_andn2_b64 s[60:61], s[60:61], exec
	v_mov_b32_e32 v23, v26
	s_waitcnt vmcnt(0) lgkmcnt(0)
	v_cmp_le_u32_e32 vcc, v24, v30
	s_and_saveexec_b64 s[62:63], vcc
	s_cbranch_execz .LBB3_92
; %bb.94:                               ;   in Loop: Header=BB3_93 Depth=2
	v_cmp_eq_u32_e32 vcc, v24, v30
	s_mov_b64 s[72:73], -1
	s_and_saveexec_b64 s[74:75], vcc
	s_cbranch_execz .LBB3_91
; %bb.95:                               ;   in Loop: Header=BB3_93 Depth=2
	flat_load_dword v28, v[51:52]
	s_xor_b64 s[72:73], exec, -1
	s_branch .LBB3_91
.LBB3_96:                               ;   in Loop: Header=BB3_65 Depth=1
	s_or_b64 exec, exec, s[58:59]
	v_mov_b32_e32 v36, v23
.LBB3_97:                               ;   in Loop: Header=BB3_65 Depth=1
	s_or_b64 exec, exec, s[56:57]
	s_waitcnt vmcnt(0) lgkmcnt(0)
	v_cmp_gt_f32_e32 vcc, v28, v27
	s_and_saveexec_b64 s[56:57], vcc
	s_cbranch_execz .LBB3_99
; %bb.98:                               ;   in Loop: Header=BB3_65 Depth=1
	v_mov_b32_e32 v27, v28
	flat_store_dword v[48:49], v28
.LBB3_99:                               ;   in Loop: Header=BB3_65 Depth=1
	s_or_b64 exec, exec, s[56:57]
	v_cmp_lt_f32_e32 vcc, v27, v12
	v_cndmask_b32_e32 v12, v12, v27, vcc
	v_cndmask_b32_e32 v62, v62, v30, vcc
	v_mov_b32_e32 v33, v30
.LBB3_100:                              ;   in Loop: Header=BB3_65 Depth=1
	s_or_b64 exec, exec, s[46:47]
.LBB3_101:                              ;   in Loop: Header=BB3_65 Depth=1
	s_or_b64 exec, exec, s[44:45]
.LBB3_102:                              ;   in Loop: Header=BB3_65 Depth=1
	s_or_b64 exec, exec, s[42:43]
.LBB3_103:                              ;   in Loop: Header=BB3_65 Depth=1
	s_or_b64 exec, exec, s[12:13]
	v_cmp_lt_i32_e32 vcc, -1, v29
	s_and_saveexec_b64 s[42:43], vcc
	s_cbranch_execz .LBB3_301
; %bb.104:                              ;   in Loop: Header=BB3_65 Depth=1
	v_cmp_ne_u32_e32 vcc, v29, v0
	v_mov_b32_e32 v30, v0
	s_and_saveexec_b64 s[12:13], vcc
	s_cbranch_execz .LBB3_122
; %bb.105:                              ;   in Loop: Header=BB3_65 Depth=1
	flat_load_dword v27, v[17:18]
	v_mov_b32_e32 v30, v0
	s_waitcnt vmcnt(0) lgkmcnt(0)
	v_cmp_ngt_f32_e32 vcc, v27, v16
	s_and_saveexec_b64 s[44:45], vcc
	s_cbranch_execz .LBB3_121
; %bb.106:                              ;   in Loop: Header=BB3_65 Depth=1
	v_add_co_u32_e32 v23, vcc, v1, v29
	v_addc_co_u32_e32 v24, vcc, 0, v2, vcc
	flat_load_ubyte v23, v[23:24]
	v_mov_b32_e32 v30, v0
	s_waitcnt vmcnt(0) lgkmcnt(0)
	v_cmp_eq_u16_e32 vcc, 0, v23
	s_and_saveexec_b64 s[46:47], vcc
	s_cbranch_execz .LBB3_120
; %bb.107:                              ;   in Loop: Header=BB3_65 Depth=1
	v_add_co_u32_e32 v23, vcc, v5, v29
	v_addc_co_u32_e32 v24, vcc, 0, v6, vcc
	flat_load_ubyte v23, v[23:24]
	v_mov_b32_e32 v30, v0
	s_waitcnt vmcnt(0) lgkmcnt(0)
	v_cmp_eq_u16_e32 vcc, 0, v23
	s_and_saveexec_b64 s[56:57], vcc
	s_cbranch_execz .LBB3_119
; %bb.108:                              ;   in Loop: Header=BB3_65 Depth=1
	v_cmp_lt_i32_e32 vcc, v36, v13
	v_mov_b32_e32 v28, v25
	s_and_saveexec_b64 s[58:59], vcc
	s_cbranch_execz .LBB3_116
; %bb.109:                              ;   in Loop: Header=BB3_65 Depth=1
	v_add_u32_e32 v23, v36, v50
	v_ashrrev_i32_e32 v24, 31, v23
	v_lshlrev_b64 v[23:24], 2, v[23:24]
	s_mov_b64 s[60:61], 0
	v_add_co_u32_e32 v51, vcc, v3, v23
	v_addc_co_u32_e32 v52, vcc, v4, v24, vcc
	v_add_co_u32_e32 v53, vcc, v7, v23
	v_addc_co_u32_e32 v54, vcc, v8, v24, vcc
	v_mov_b32_e32 v26, v36
	v_mov_b32_e32 v28, v25
                                        ; implicit-def: $sgpr62_sgpr63
	s_branch .LBB3_112
.LBB3_110:                              ;   in Loop: Header=BB3_112 Depth=2
	s_or_b64 exec, exec, s[76:77]
	s_andn2_b64 s[62:63], s[62:63], exec
	s_and_b64 s[74:75], s[74:75], exec
	s_or_b64 s[62:63], s[62:63], s[74:75]
	v_mov_b32_e32 v30, v36
.LBB3_111:                              ;   in Loop: Header=BB3_112 Depth=2
	s_or_b64 exec, exec, s[72:73]
	v_add_u32_e32 v26, 1, v26
	v_cmp_ge_i32_e32 vcc, v26, v13
	s_xor_b64 s[72:73], s[62:63], -1
	s_or_b64 s[72:73], s[72:73], vcc
	v_add_co_u32_e32 v51, vcc, 4, v51
	v_addc_co_u32_e32 v52, vcc, 0, v52, vcc
	v_add_co_u32_e32 v53, vcc, 4, v53
	s_and_b64 s[72:73], exec, s[72:73]
	v_addc_co_u32_e32 v54, vcc, 0, v54, vcc
	s_or_b64 s[60:61], s[72:73], s[60:61]
	v_mov_b32_e32 v36, v30
	s_andn2_b64 exec, exec, s[60:61]
	s_cbranch_execz .LBB3_115
.LBB3_112:                              ;   Parent Loop BB3_65 Depth=1
                                        ; =>  This Inner Loop Header: Depth=2
	flat_load_dword v23, v[53:54]
	s_andn2_b64 s[62:63], s[62:63], exec
	v_mov_b32_e32 v30, v26
	s_waitcnt vmcnt(0) lgkmcnt(0)
	v_cmp_le_u32_e32 vcc, v23, v29
	s_and_saveexec_b64 s[72:73], vcc
	s_cbranch_execz .LBB3_111
; %bb.113:                              ;   in Loop: Header=BB3_112 Depth=2
	v_cmp_eq_u32_e32 vcc, v23, v29
	s_mov_b64 s[74:75], -1
	s_and_saveexec_b64 s[76:77], vcc
	s_cbranch_execz .LBB3_110
; %bb.114:                              ;   in Loop: Header=BB3_112 Depth=2
	flat_load_dword v28, v[51:52]
	s_xor_b64 s[74:75], exec, -1
	s_branch .LBB3_110
.LBB3_115:                              ;   in Loop: Header=BB3_65 Depth=1
	s_or_b64 exec, exec, s[60:61]
	v_mov_b32_e32 v36, v30
.LBB3_116:                              ;   in Loop: Header=BB3_65 Depth=1
	s_or_b64 exec, exec, s[58:59]
	s_waitcnt vmcnt(0) lgkmcnt(0)
	v_cmp_gt_f32_e32 vcc, v28, v27
	s_and_saveexec_b64 s[58:59], vcc
	s_cbranch_execz .LBB3_118
; %bb.117:                              ;   in Loop: Header=BB3_65 Depth=1
	v_mov_b32_e32 v27, v28
	flat_store_dword v[17:18], v28
.LBB3_118:                              ;   in Loop: Header=BB3_65 Depth=1
	s_or_b64 exec, exec, s[58:59]
	v_cmp_lt_f32_e32 vcc, v27, v12
	v_cndmask_b32_e32 v12, v12, v27, vcc
	v_cndmask_b32_e32 v62, v62, v29, vcc
	v_mov_b32_e32 v30, v29
.LBB3_119:                              ;   in Loop: Header=BB3_65 Depth=1
	s_or_b64 exec, exec, s[56:57]
.LBB3_120:                              ;   in Loop: Header=BB3_65 Depth=1
	s_or_b64 exec, exec, s[46:47]
.LBB3_121:                              ;   in Loop: Header=BB3_65 Depth=1
	s_or_b64 exec, exec, s[44:45]
.LBB3_122:                              ;   in Loop: Header=BB3_65 Depth=1
	s_or_b64 exec, exec, s[12:13]
	v_cmp_lt_i32_e32 vcc, -1, v35
	s_and_saveexec_b64 s[44:45], vcc
	s_cbranch_execz .LBB3_300
; %bb.123:                              ;   in Loop: Header=BB3_65 Depth=1
	v_cmp_ne_u32_e32 vcc, v35, v0
	v_mov_b32_e32 v29, v0
	s_and_saveexec_b64 s[12:13], vcc
	s_cbranch_execz .LBB3_141
; %bb.124:                              ;   in Loop: Header=BB3_65 Depth=1
	flat_load_dword v27, v[19:20]
	v_mov_b32_e32 v29, v0
	s_waitcnt vmcnt(0) lgkmcnt(0)
	v_cmp_ngt_f32_e32 vcc, v27, v16
	s_and_saveexec_b64 s[46:47], vcc
	s_cbranch_execz .LBB3_140
; %bb.125:                              ;   in Loop: Header=BB3_65 Depth=1
	v_add_co_u32_e32 v23, vcc, v1, v35
	v_addc_co_u32_e32 v24, vcc, 0, v2, vcc
	flat_load_ubyte v23, v[23:24]
	v_mov_b32_e32 v29, v0
	s_waitcnt vmcnt(0) lgkmcnt(0)
	v_cmp_eq_u16_e32 vcc, 0, v23
	s_and_saveexec_b64 s[56:57], vcc
	s_cbranch_execz .LBB3_139
; %bb.126:                              ;   in Loop: Header=BB3_65 Depth=1
	v_add_co_u32_e32 v23, vcc, v5, v35
	v_addc_co_u32_e32 v24, vcc, 0, v6, vcc
	flat_load_ubyte v23, v[23:24]
	v_mov_b32_e32 v29, v0
	s_waitcnt vmcnt(0) lgkmcnt(0)
	v_cmp_eq_u16_e32 vcc, 0, v23
	s_and_saveexec_b64 s[58:59], vcc
	s_cbranch_execz .LBB3_138
; %bb.127:                              ;   in Loop: Header=BB3_65 Depth=1
	v_cmp_lt_i32_e32 vcc, v36, v13
	v_mov_b32_e32 v28, v25
	s_and_saveexec_b64 s[60:61], vcc
	s_cbranch_execz .LBB3_135
; %bb.128:                              ;   in Loop: Header=BB3_65 Depth=1
	v_add_u32_e32 v23, v36, v50
	v_ashrrev_i32_e32 v24, 31, v23
	v_lshlrev_b64 v[23:24], 2, v[23:24]
	s_mov_b64 s[62:63], 0
	v_add_co_u32_e32 v51, vcc, v3, v23
	v_addc_co_u32_e32 v52, vcc, v4, v24, vcc
	v_add_co_u32_e32 v53, vcc, v7, v23
	v_addc_co_u32_e32 v54, vcc, v8, v24, vcc
	v_mov_b32_e32 v26, v36
	v_mov_b32_e32 v28, v25
                                        ; implicit-def: $sgpr72_sgpr73
	s_branch .LBB3_131
.LBB3_129:                              ;   in Loop: Header=BB3_131 Depth=2
	s_or_b64 exec, exec, s[78:79]
	s_andn2_b64 s[72:73], s[72:73], exec
	s_and_b64 s[76:77], s[76:77], exec
	s_or_b64 s[72:73], s[72:73], s[76:77]
	v_mov_b32_e32 v29, v26
.LBB3_130:                              ;   in Loop: Header=BB3_131 Depth=2
	s_or_b64 exec, exec, s[74:75]
	v_add_u32_e32 v36, 1, v36
	v_cmp_ge_i32_e32 vcc, v36, v13
	s_xor_b64 s[74:75], s[72:73], -1
	s_or_b64 s[74:75], s[74:75], vcc
	v_add_co_u32_e32 v51, vcc, 4, v51
	v_addc_co_u32_e32 v52, vcc, 0, v52, vcc
	v_add_co_u32_e32 v53, vcc, 4, v53
	s_and_b64 s[74:75], exec, s[74:75]
	v_addc_co_u32_e32 v54, vcc, 0, v54, vcc
	s_or_b64 s[62:63], s[74:75], s[62:63]
	v_mov_b32_e32 v26, v29
	s_andn2_b64 exec, exec, s[62:63]
	s_cbranch_execz .LBB3_134
.LBB3_131:                              ;   Parent Loop BB3_65 Depth=1
                                        ; =>  This Inner Loop Header: Depth=2
	flat_load_dword v23, v[53:54]
	s_andn2_b64 s[72:73], s[72:73], exec
	v_mov_b32_e32 v29, v36
	s_waitcnt vmcnt(0) lgkmcnt(0)
	v_cmp_le_u32_e32 vcc, v23, v35
	s_and_saveexec_b64 s[74:75], vcc
	s_cbranch_execz .LBB3_130
; %bb.132:                              ;   in Loop: Header=BB3_131 Depth=2
	v_cmp_eq_u32_e32 vcc, v23, v35
	s_mov_b64 s[76:77], -1
	s_and_saveexec_b64 s[78:79], vcc
	s_cbranch_execz .LBB3_129
; %bb.133:                              ;   in Loop: Header=BB3_131 Depth=2
	flat_load_dword v28, v[51:52]
	s_xor_b64 s[76:77], exec, -1
	s_branch .LBB3_129
.LBB3_134:                              ;   in Loop: Header=BB3_65 Depth=1
	s_or_b64 exec, exec, s[62:63]
	v_mov_b32_e32 v36, v29
.LBB3_135:                              ;   in Loop: Header=BB3_65 Depth=1
	s_or_b64 exec, exec, s[60:61]
	s_waitcnt vmcnt(0) lgkmcnt(0)
	v_cmp_gt_f32_e32 vcc, v28, v27
	s_and_saveexec_b64 s[60:61], vcc
	s_cbranch_execz .LBB3_137
; %bb.136:                              ;   in Loop: Header=BB3_65 Depth=1
	v_mov_b32_e32 v27, v28
	flat_store_dword v[19:20], v28
.LBB3_137:                              ;   in Loop: Header=BB3_65 Depth=1
	s_or_b64 exec, exec, s[60:61]
	v_cmp_lt_f32_e32 vcc, v27, v12
	v_cndmask_b32_e32 v12, v12, v27, vcc
	v_cndmask_b32_e32 v62, v62, v35, vcc
	v_mov_b32_e32 v29, v35
.LBB3_138:                              ;   in Loop: Header=BB3_65 Depth=1
	s_or_b64 exec, exec, s[58:59]
.LBB3_139:                              ;   in Loop: Header=BB3_65 Depth=1
	s_or_b64 exec, exec, s[56:57]
.LBB3_140:                              ;   in Loop: Header=BB3_65 Depth=1
	s_or_b64 exec, exec, s[46:47]
.LBB3_141:                              ;   in Loop: Header=BB3_65 Depth=1
	s_or_b64 exec, exec, s[12:13]
	v_cmp_lt_i32_e32 vcc, -1, v31
	s_and_saveexec_b64 s[46:47], vcc
	s_cbranch_execz .LBB3_299
; %bb.142:                              ;   in Loop: Header=BB3_65 Depth=1
	v_cmp_ne_u32_e32 vcc, v31, v0
	v_mov_b32_e32 v35, v0
	s_and_saveexec_b64 s[12:13], vcc
	s_cbranch_execz .LBB3_160
; %bb.143:                              ;   in Loop: Header=BB3_65 Depth=1
	flat_load_dword v27, v[21:22]
	v_mov_b32_e32 v35, v0
	s_waitcnt vmcnt(0) lgkmcnt(0)
	v_cmp_ngt_f32_e32 vcc, v27, v16
	s_and_saveexec_b64 s[56:57], vcc
	s_cbranch_execz .LBB3_159
; %bb.144:                              ;   in Loop: Header=BB3_65 Depth=1
	v_add_co_u32_e32 v23, vcc, v1, v31
	v_addc_co_u32_e32 v24, vcc, 0, v2, vcc
	flat_load_ubyte v23, v[23:24]
	v_mov_b32_e32 v35, v0
	s_waitcnt vmcnt(0) lgkmcnt(0)
	v_cmp_eq_u16_e32 vcc, 0, v23
	s_and_saveexec_b64 s[58:59], vcc
	s_cbranch_execz .LBB3_158
; %bb.145:                              ;   in Loop: Header=BB3_65 Depth=1
	v_add_co_u32_e32 v23, vcc, v5, v31
	v_addc_co_u32_e32 v24, vcc, 0, v6, vcc
	flat_load_ubyte v23, v[23:24]
	v_mov_b32_e32 v35, v0
	s_waitcnt vmcnt(0) lgkmcnt(0)
	v_cmp_eq_u16_e32 vcc, 0, v23
	s_and_saveexec_b64 s[60:61], vcc
	s_cbranch_execz .LBB3_157
; %bb.146:                              ;   in Loop: Header=BB3_65 Depth=1
	v_cmp_lt_i32_e32 vcc, v36, v13
	v_mov_b32_e32 v28, v25
	s_and_saveexec_b64 s[62:63], vcc
	s_cbranch_execz .LBB3_154
; %bb.147:                              ;   in Loop: Header=BB3_65 Depth=1
	v_add_u32_e32 v23, v36, v50
	v_ashrrev_i32_e32 v24, 31, v23
	v_lshlrev_b64 v[23:24], 2, v[23:24]
	s_mov_b64 s[72:73], 0
	v_add_co_u32_e32 v51, vcc, v3, v23
	v_addc_co_u32_e32 v52, vcc, v4, v24, vcc
	v_add_co_u32_e32 v53, vcc, v7, v23
	v_addc_co_u32_e32 v54, vcc, v8, v24, vcc
	v_mov_b32_e32 v26, v36
	v_mov_b32_e32 v28, v25
                                        ; implicit-def: $sgpr74_sgpr75
	s_branch .LBB3_150
.LBB3_148:                              ;   in Loop: Header=BB3_150 Depth=2
	s_or_b64 exec, exec, s[88:89]
	s_andn2_b64 s[74:75], s[74:75], exec
	s_and_b64 s[78:79], s[78:79], exec
	s_or_b64 s[74:75], s[74:75], s[78:79]
	v_mov_b32_e32 v35, v26
.LBB3_149:                              ;   in Loop: Header=BB3_150 Depth=2
	s_or_b64 exec, exec, s[76:77]
	v_add_u32_e32 v36, 1, v36
	v_cmp_ge_i32_e32 vcc, v36, v13
	s_xor_b64 s[76:77], s[74:75], -1
	s_or_b64 s[76:77], s[76:77], vcc
	v_add_co_u32_e32 v51, vcc, 4, v51
	v_addc_co_u32_e32 v52, vcc, 0, v52, vcc
	v_add_co_u32_e32 v53, vcc, 4, v53
	s_and_b64 s[76:77], exec, s[76:77]
	v_addc_co_u32_e32 v54, vcc, 0, v54, vcc
	s_or_b64 s[72:73], s[76:77], s[72:73]
	v_mov_b32_e32 v26, v35
	s_andn2_b64 exec, exec, s[72:73]
	s_cbranch_execz .LBB3_153
.LBB3_150:                              ;   Parent Loop BB3_65 Depth=1
                                        ; =>  This Inner Loop Header: Depth=2
	flat_load_dword v23, v[53:54]
	s_andn2_b64 s[74:75], s[74:75], exec
	v_mov_b32_e32 v35, v36
	s_waitcnt vmcnt(0) lgkmcnt(0)
	v_cmp_le_u32_e32 vcc, v23, v31
	s_and_saveexec_b64 s[76:77], vcc
	s_cbranch_execz .LBB3_149
; %bb.151:                              ;   in Loop: Header=BB3_150 Depth=2
	v_cmp_eq_u32_e32 vcc, v23, v31
	s_mov_b64 s[78:79], -1
	s_and_saveexec_b64 s[88:89], vcc
	s_cbranch_execz .LBB3_148
; %bb.152:                              ;   in Loop: Header=BB3_150 Depth=2
	flat_load_dword v28, v[51:52]
	s_xor_b64 s[78:79], exec, -1
	s_branch .LBB3_148
.LBB3_153:                              ;   in Loop: Header=BB3_65 Depth=1
	s_or_b64 exec, exec, s[72:73]
	v_mov_b32_e32 v36, v35
.LBB3_154:                              ;   in Loop: Header=BB3_65 Depth=1
	s_or_b64 exec, exec, s[62:63]
	s_waitcnt vmcnt(0) lgkmcnt(0)
	v_cmp_gt_f32_e32 vcc, v28, v27
	s_and_saveexec_b64 s[62:63], vcc
	s_cbranch_execz .LBB3_156
; %bb.155:                              ;   in Loop: Header=BB3_65 Depth=1
	v_mov_b32_e32 v27, v28
	flat_store_dword v[21:22], v28
.LBB3_156:                              ;   in Loop: Header=BB3_65 Depth=1
	s_or_b64 exec, exec, s[62:63]
	v_cmp_lt_f32_e32 vcc, v27, v12
	v_cndmask_b32_e32 v12, v12, v27, vcc
	v_cndmask_b32_e32 v62, v62, v31, vcc
	v_mov_b32_e32 v35, v31
.LBB3_157:                              ;   in Loop: Header=BB3_65 Depth=1
	s_or_b64 exec, exec, s[60:61]
.LBB3_158:                              ;   in Loop: Header=BB3_65 Depth=1
	s_or_b64 exec, exec, s[58:59]
.LBB3_159:                              ;   in Loop: Header=BB3_65 Depth=1
	s_or_b64 exec, exec, s[56:57]
.LBB3_160:                              ;   in Loop: Header=BB3_65 Depth=1
	s_or_b64 exec, exec, s[12:13]
	v_cmp_lt_i32_e32 vcc, -1, v34
	s_and_saveexec_b64 s[56:57], vcc
	s_cbranch_execz .LBB3_298
; %bb.161:                              ;   in Loop: Header=BB3_65 Depth=1
	v_cmp_ne_u32_e32 vcc, v34, v0
	v_mov_b32_e32 v31, v0
	s_and_saveexec_b64 s[12:13], vcc
	s_cbranch_execz .LBB3_179
; %bb.162:                              ;   in Loop: Header=BB3_65 Depth=1
	buffer_load_dword v23, off, s[0:3], s32 offset:60 ; 4-byte Folded Reload
	buffer_load_dword v24, off, s[0:3], s32 offset:64 ; 4-byte Folded Reload
	v_mov_b32_e32 v31, v0
	s_waitcnt vmcnt(0)
	flat_load_dword v27, v[23:24]
	s_waitcnt vmcnt(0) lgkmcnt(0)
	v_cmp_ngt_f32_e32 vcc, v27, v16
	s_and_saveexec_b64 s[58:59], vcc
	s_cbranch_execz .LBB3_178
; %bb.163:                              ;   in Loop: Header=BB3_65 Depth=1
	v_add_co_u32_e32 v23, vcc, v1, v34
	v_addc_co_u32_e32 v24, vcc, 0, v2, vcc
	flat_load_ubyte v23, v[23:24]
	v_mov_b32_e32 v31, v0
	s_waitcnt vmcnt(0) lgkmcnt(0)
	v_cmp_eq_u16_e32 vcc, 0, v23
	s_and_saveexec_b64 s[60:61], vcc
	s_cbranch_execz .LBB3_177
; %bb.164:                              ;   in Loop: Header=BB3_65 Depth=1
	v_add_co_u32_e32 v23, vcc, v5, v34
	v_addc_co_u32_e32 v24, vcc, 0, v6, vcc
	flat_load_ubyte v23, v[23:24]
	v_mov_b32_e32 v31, v0
	s_waitcnt vmcnt(0) lgkmcnt(0)
	v_cmp_eq_u16_e32 vcc, 0, v23
	s_and_saveexec_b64 s[62:63], vcc
	s_cbranch_execz .LBB3_176
; %bb.165:                              ;   in Loop: Header=BB3_65 Depth=1
	v_cmp_lt_i32_e32 vcc, v36, v13
	v_mov_b32_e32 v28, v25
	s_and_saveexec_b64 s[72:73], vcc
	s_cbranch_execz .LBB3_173
; %bb.166:                              ;   in Loop: Header=BB3_65 Depth=1
	v_add_u32_e32 v23, v36, v50
	v_ashrrev_i32_e32 v24, 31, v23
	v_lshlrev_b64 v[23:24], 2, v[23:24]
	s_mov_b64 s[74:75], 0
	v_add_co_u32_e32 v51, vcc, v3, v23
	v_addc_co_u32_e32 v52, vcc, v4, v24, vcc
	v_add_co_u32_e32 v53, vcc, v7, v23
	v_addc_co_u32_e32 v54, vcc, v8, v24, vcc
	v_mov_b32_e32 v26, v36
	v_mov_b32_e32 v28, v25
                                        ; implicit-def: $sgpr76_sgpr77
	s_branch .LBB3_169
.LBB3_167:                              ;   in Loop: Header=BB3_169 Depth=2
	s_or_b64 exec, exec, s[90:91]
	s_andn2_b64 s[76:77], s[76:77], exec
	s_and_b64 s[88:89], s[88:89], exec
	s_or_b64 s[76:77], s[76:77], s[88:89]
	v_mov_b32_e32 v31, v26
.LBB3_168:                              ;   in Loop: Header=BB3_169 Depth=2
	s_or_b64 exec, exec, s[78:79]
	v_add_u32_e32 v36, 1, v36
	v_cmp_ge_i32_e32 vcc, v36, v13
	s_xor_b64 s[78:79], s[76:77], -1
	s_or_b64 s[78:79], s[78:79], vcc
	v_add_co_u32_e32 v51, vcc, 4, v51
	v_addc_co_u32_e32 v52, vcc, 0, v52, vcc
	v_add_co_u32_e32 v53, vcc, 4, v53
	s_and_b64 s[78:79], exec, s[78:79]
	v_addc_co_u32_e32 v54, vcc, 0, v54, vcc
	s_or_b64 s[74:75], s[78:79], s[74:75]
	v_mov_b32_e32 v26, v31
	s_andn2_b64 exec, exec, s[74:75]
	s_cbranch_execz .LBB3_172
.LBB3_169:                              ;   Parent Loop BB3_65 Depth=1
                                        ; =>  This Inner Loop Header: Depth=2
	flat_load_dword v23, v[53:54]
	s_andn2_b64 s[76:77], s[76:77], exec
	v_mov_b32_e32 v31, v36
	s_waitcnt vmcnt(0) lgkmcnt(0)
	v_cmp_le_u32_e32 vcc, v23, v34
	s_and_saveexec_b64 s[78:79], vcc
	s_cbranch_execz .LBB3_168
; %bb.170:                              ;   in Loop: Header=BB3_169 Depth=2
	v_cmp_eq_u32_e32 vcc, v23, v34
	s_mov_b64 s[88:89], -1
	s_and_saveexec_b64 s[90:91], vcc
	s_cbranch_execz .LBB3_167
; %bb.171:                              ;   in Loop: Header=BB3_169 Depth=2
	flat_load_dword v28, v[51:52]
	s_xor_b64 s[88:89], exec, -1
	s_branch .LBB3_167
.LBB3_172:                              ;   in Loop: Header=BB3_65 Depth=1
	s_or_b64 exec, exec, s[74:75]
	v_mov_b32_e32 v36, v31
.LBB3_173:                              ;   in Loop: Header=BB3_65 Depth=1
	s_or_b64 exec, exec, s[72:73]
	s_waitcnt vmcnt(0) lgkmcnt(0)
	v_cmp_gt_f32_e32 vcc, v28, v27
	s_and_saveexec_b64 s[72:73], vcc
	s_cbranch_execz .LBB3_175
; %bb.174:                              ;   in Loop: Header=BB3_65 Depth=1
	buffer_load_dword v23, off, s[0:3], s32 offset:60 ; 4-byte Folded Reload
	buffer_load_dword v24, off, s[0:3], s32 offset:64 ; 4-byte Folded Reload
	v_mov_b32_e32 v27, v28
	s_waitcnt vmcnt(0)
	flat_store_dword v[23:24], v28
.LBB3_175:                              ;   in Loop: Header=BB3_65 Depth=1
	s_or_b64 exec, exec, s[72:73]
	v_cmp_lt_f32_e32 vcc, v27, v12
	v_cndmask_b32_e32 v12, v12, v27, vcc
	v_cndmask_b32_e32 v62, v62, v34, vcc
	v_mov_b32_e32 v31, v34
.LBB3_176:                              ;   in Loop: Header=BB3_65 Depth=1
	s_or_b64 exec, exec, s[62:63]
.LBB3_177:                              ;   in Loop: Header=BB3_65 Depth=1
	s_or_b64 exec, exec, s[60:61]
.LBB3_178:                              ;   in Loop: Header=BB3_65 Depth=1
	s_or_b64 exec, exec, s[58:59]
.LBB3_179:                              ;   in Loop: Header=BB3_65 Depth=1
	s_or_b64 exec, exec, s[12:13]
	v_cmp_lt_i32_e32 vcc, -1, v61
	s_and_saveexec_b64 s[58:59], vcc
	s_cbranch_execz .LBB3_297
; %bb.180:                              ;   in Loop: Header=BB3_65 Depth=1
	v_cmp_ne_u32_e32 vcc, v61, v0
	v_mov_b32_e32 v34, v0
	s_and_saveexec_b64 s[12:13], vcc
	s_cbranch_execz .LBB3_198
; %bb.181:                              ;   in Loop: Header=BB3_65 Depth=1
	buffer_load_dword v23, off, s[0:3], s32 offset:68 ; 4-byte Folded Reload
	buffer_load_dword v24, off, s[0:3], s32 offset:72 ; 4-byte Folded Reload
	v_mov_b32_e32 v34, v0
	s_waitcnt vmcnt(0)
	flat_load_dword v27, v[23:24]
	s_waitcnt vmcnt(0) lgkmcnt(0)
	v_cmp_ngt_f32_e32 vcc, v27, v16
	s_and_saveexec_b64 s[60:61], vcc
	s_cbranch_execz .LBB3_197
; %bb.182:                              ;   in Loop: Header=BB3_65 Depth=1
	v_add_co_u32_e32 v23, vcc, v1, v61
	v_addc_co_u32_e32 v24, vcc, 0, v2, vcc
	flat_load_ubyte v23, v[23:24]
	v_mov_b32_e32 v34, v0
	s_waitcnt vmcnt(0) lgkmcnt(0)
	v_cmp_eq_u16_e32 vcc, 0, v23
	s_and_saveexec_b64 s[62:63], vcc
	s_cbranch_execz .LBB3_196
; %bb.183:                              ;   in Loop: Header=BB3_65 Depth=1
	v_add_co_u32_e32 v23, vcc, v5, v61
	v_addc_co_u32_e32 v24, vcc, 0, v6, vcc
	flat_load_ubyte v23, v[23:24]
	v_mov_b32_e32 v34, v0
	s_waitcnt vmcnt(0) lgkmcnt(0)
	v_cmp_eq_u16_e32 vcc, 0, v23
	s_and_saveexec_b64 s[72:73], vcc
	s_cbranch_execz .LBB3_195
; %bb.184:                              ;   in Loop: Header=BB3_65 Depth=1
	v_cmp_lt_i32_e32 vcc, v36, v13
	v_mov_b32_e32 v28, v25
	s_and_saveexec_b64 s[74:75], vcc
	s_cbranch_execz .LBB3_192
; %bb.185:                              ;   in Loop: Header=BB3_65 Depth=1
	v_add_u32_e32 v23, v36, v50
	v_ashrrev_i32_e32 v24, 31, v23
	v_lshlrev_b64 v[23:24], 2, v[23:24]
	s_mov_b64 s[76:77], 0
	v_add_co_u32_e32 v51, vcc, v3, v23
	v_addc_co_u32_e32 v52, vcc, v4, v24, vcc
	v_add_co_u32_e32 v53, vcc, v7, v23
	v_addc_co_u32_e32 v54, vcc, v8, v24, vcc
	v_mov_b32_e32 v26, v36
	v_mov_b32_e32 v28, v25
                                        ; implicit-def: $sgpr78_sgpr79
	s_branch .LBB3_188
.LBB3_186:                              ;   in Loop: Header=BB3_188 Depth=2
	s_or_b64 exec, exec, s[92:93]
	s_andn2_b64 s[78:79], s[78:79], exec
	s_and_b64 s[90:91], s[90:91], exec
	s_or_b64 s[78:79], s[78:79], s[90:91]
	v_mov_b32_e32 v34, v26
.LBB3_187:                              ;   in Loop: Header=BB3_188 Depth=2
	s_or_b64 exec, exec, s[88:89]
	v_add_u32_e32 v36, 1, v36
	v_cmp_ge_i32_e32 vcc, v36, v13
	s_xor_b64 s[88:89], s[78:79], -1
	s_or_b64 s[88:89], s[88:89], vcc
	v_add_co_u32_e32 v51, vcc, 4, v51
	v_addc_co_u32_e32 v52, vcc, 0, v52, vcc
	v_add_co_u32_e32 v53, vcc, 4, v53
	s_and_b64 s[88:89], exec, s[88:89]
	v_addc_co_u32_e32 v54, vcc, 0, v54, vcc
	s_or_b64 s[76:77], s[88:89], s[76:77]
	v_mov_b32_e32 v26, v34
	s_andn2_b64 exec, exec, s[76:77]
	s_cbranch_execz .LBB3_191
.LBB3_188:                              ;   Parent Loop BB3_65 Depth=1
                                        ; =>  This Inner Loop Header: Depth=2
	flat_load_dword v23, v[53:54]
	s_andn2_b64 s[78:79], s[78:79], exec
	v_mov_b32_e32 v34, v36
	s_waitcnt vmcnt(0) lgkmcnt(0)
	v_cmp_le_u32_e32 vcc, v23, v61
	s_and_saveexec_b64 s[88:89], vcc
	s_cbranch_execz .LBB3_187
; %bb.189:                              ;   in Loop: Header=BB3_188 Depth=2
	v_cmp_eq_u32_e32 vcc, v23, v61
	s_mov_b64 s[90:91], -1
	s_and_saveexec_b64 s[92:93], vcc
	s_cbranch_execz .LBB3_186
; %bb.190:                              ;   in Loop: Header=BB3_188 Depth=2
	flat_load_dword v28, v[51:52]
	s_xor_b64 s[90:91], exec, -1
	s_branch .LBB3_186
.LBB3_191:                              ;   in Loop: Header=BB3_65 Depth=1
	s_or_b64 exec, exec, s[76:77]
	v_mov_b32_e32 v36, v34
.LBB3_192:                              ;   in Loop: Header=BB3_65 Depth=1
	s_or_b64 exec, exec, s[74:75]
	s_waitcnt vmcnt(0) lgkmcnt(0)
	v_cmp_gt_f32_e32 vcc, v28, v27
	s_and_saveexec_b64 s[74:75], vcc
	s_cbranch_execz .LBB3_194
; %bb.193:                              ;   in Loop: Header=BB3_65 Depth=1
	buffer_load_dword v23, off, s[0:3], s32 offset:68 ; 4-byte Folded Reload
	buffer_load_dword v24, off, s[0:3], s32 offset:72 ; 4-byte Folded Reload
	v_mov_b32_e32 v27, v28
	s_waitcnt vmcnt(0)
	flat_store_dword v[23:24], v28
.LBB3_194:                              ;   in Loop: Header=BB3_65 Depth=1
	s_or_b64 exec, exec, s[74:75]
	v_cmp_lt_f32_e32 vcc, v27, v12
	v_cndmask_b32_e32 v12, v12, v27, vcc
	v_cndmask_b32_e32 v62, v62, v61, vcc
	v_mov_b32_e32 v34, v61
.LBB3_195:                              ;   in Loop: Header=BB3_65 Depth=1
	s_or_b64 exec, exec, s[72:73]
.LBB3_196:                              ;   in Loop: Header=BB3_65 Depth=1
	s_or_b64 exec, exec, s[62:63]
.LBB3_197:                              ;   in Loop: Header=BB3_65 Depth=1
	s_or_b64 exec, exec, s[60:61]
.LBB3_198:                              ;   in Loop: Header=BB3_65 Depth=1
	s_or_b64 exec, exec, s[12:13]
	v_cmp_lt_i32_e32 vcc, -1, v60
	s_and_saveexec_b64 s[60:61], vcc
	s_cbranch_execz .LBB3_296
; %bb.199:                              ;   in Loop: Header=BB3_65 Depth=1
	v_cmp_ne_u32_e32 vcc, v60, v0
	v_mov_b32_e32 v39, v0
	s_and_saveexec_b64 s[12:13], vcc
	s_cbranch_execz .LBB3_217
; %bb.200:                              ;   in Loop: Header=BB3_65 Depth=1
	buffer_load_dword v23, off, s[0:3], s32 offset:76 ; 4-byte Folded Reload
	buffer_load_dword v24, off, s[0:3], s32 offset:80 ; 4-byte Folded Reload
	v_mov_b32_e32 v39, v0
	s_waitcnt vmcnt(0)
	flat_load_dword v27, v[23:24]
	s_waitcnt vmcnt(0) lgkmcnt(0)
	v_cmp_ngt_f32_e32 vcc, v27, v16
	s_and_saveexec_b64 s[62:63], vcc
	s_cbranch_execz .LBB3_216
; %bb.201:                              ;   in Loop: Header=BB3_65 Depth=1
	v_add_co_u32_e32 v23, vcc, v1, v60
	v_addc_co_u32_e32 v24, vcc, 0, v2, vcc
	flat_load_ubyte v23, v[23:24]
	v_mov_b32_e32 v39, v0
	s_waitcnt vmcnt(0) lgkmcnt(0)
	v_cmp_eq_u16_e32 vcc, 0, v23
	s_and_saveexec_b64 s[72:73], vcc
	s_cbranch_execz .LBB3_215
; %bb.202:                              ;   in Loop: Header=BB3_65 Depth=1
	v_add_co_u32_e32 v23, vcc, v5, v60
	v_addc_co_u32_e32 v24, vcc, 0, v6, vcc
	flat_load_ubyte v23, v[23:24]
	v_mov_b32_e32 v39, v0
	s_waitcnt vmcnt(0) lgkmcnt(0)
	v_cmp_eq_u16_e32 vcc, 0, v23
	s_and_saveexec_b64 s[74:75], vcc
	s_cbranch_execz .LBB3_214
; %bb.203:                              ;   in Loop: Header=BB3_65 Depth=1
	v_cmp_lt_i32_e32 vcc, v36, v13
	v_mov_b32_e32 v28, v25
	s_and_saveexec_b64 s[76:77], vcc
	s_cbranch_execz .LBB3_211
; %bb.204:                              ;   in Loop: Header=BB3_65 Depth=1
	v_add_u32_e32 v23, v36, v50
	v_ashrrev_i32_e32 v24, 31, v23
	v_lshlrev_b64 v[23:24], 2, v[23:24]
	s_mov_b64 s[78:79], 0
	v_add_co_u32_e32 v51, vcc, v3, v23
	v_addc_co_u32_e32 v52, vcc, v4, v24, vcc
	v_add_co_u32_e32 v53, vcc, v7, v23
	v_addc_co_u32_e32 v54, vcc, v8, v24, vcc
	v_mov_b32_e32 v26, v36
	v_mov_b32_e32 v28, v25
                                        ; implicit-def: $sgpr88_sgpr89
	s_branch .LBB3_207
.LBB3_205:                              ;   in Loop: Header=BB3_207 Depth=2
	s_or_b64 exec, exec, s[94:95]
	s_andn2_b64 s[88:89], s[88:89], exec
	s_and_b64 s[92:93], s[92:93], exec
	s_or_b64 s[88:89], s[88:89], s[92:93]
	v_mov_b32_e32 v39, v26
.LBB3_206:                              ;   in Loop: Header=BB3_207 Depth=2
	s_or_b64 exec, exec, s[90:91]
	v_add_u32_e32 v36, 1, v36
	v_cmp_ge_i32_e32 vcc, v36, v13
	s_xor_b64 s[90:91], s[88:89], -1
	s_or_b64 s[90:91], s[90:91], vcc
	v_add_co_u32_e32 v51, vcc, 4, v51
	v_addc_co_u32_e32 v52, vcc, 0, v52, vcc
	v_add_co_u32_e32 v53, vcc, 4, v53
	s_and_b64 s[90:91], exec, s[90:91]
	v_addc_co_u32_e32 v54, vcc, 0, v54, vcc
	s_or_b64 s[78:79], s[90:91], s[78:79]
	v_mov_b32_e32 v26, v39
	s_andn2_b64 exec, exec, s[78:79]
	s_cbranch_execz .LBB3_210
.LBB3_207:                              ;   Parent Loop BB3_65 Depth=1
                                        ; =>  This Inner Loop Header: Depth=2
	flat_load_dword v23, v[53:54]
	s_andn2_b64 s[88:89], s[88:89], exec
	v_mov_b32_e32 v39, v36
	s_waitcnt vmcnt(0) lgkmcnt(0)
	v_cmp_le_u32_e32 vcc, v23, v60
	s_and_saveexec_b64 s[90:91], vcc
	s_cbranch_execz .LBB3_206
; %bb.208:                              ;   in Loop: Header=BB3_207 Depth=2
	v_cmp_eq_u32_e32 vcc, v23, v60
	s_mov_b64 s[92:93], -1
	s_and_saveexec_b64 s[94:95], vcc
	s_cbranch_execz .LBB3_205
; %bb.209:                              ;   in Loop: Header=BB3_207 Depth=2
	flat_load_dword v28, v[51:52]
	s_xor_b64 s[92:93], exec, -1
	s_branch .LBB3_205
.LBB3_210:                              ;   in Loop: Header=BB3_65 Depth=1
	s_or_b64 exec, exec, s[78:79]
	v_mov_b32_e32 v36, v39
.LBB3_211:                              ;   in Loop: Header=BB3_65 Depth=1
	s_or_b64 exec, exec, s[76:77]
	s_waitcnt vmcnt(0) lgkmcnt(0)
	v_cmp_gt_f32_e32 vcc, v28, v27
	s_and_saveexec_b64 s[76:77], vcc
	s_cbranch_execz .LBB3_213
; %bb.212:                              ;   in Loop: Header=BB3_65 Depth=1
	buffer_load_dword v23, off, s[0:3], s32 offset:76 ; 4-byte Folded Reload
	buffer_load_dword v24, off, s[0:3], s32 offset:80 ; 4-byte Folded Reload
	v_mov_b32_e32 v27, v28
	s_waitcnt vmcnt(0)
	flat_store_dword v[23:24], v28
.LBB3_213:                              ;   in Loop: Header=BB3_65 Depth=1
	s_or_b64 exec, exec, s[76:77]
	v_cmp_lt_f32_e32 vcc, v27, v12
	v_cndmask_b32_e32 v12, v12, v27, vcc
	v_cndmask_b32_e32 v62, v62, v60, vcc
	v_mov_b32_e32 v39, v60
.LBB3_214:                              ;   in Loop: Header=BB3_65 Depth=1
	s_or_b64 exec, exec, s[74:75]
.LBB3_215:                              ;   in Loop: Header=BB3_65 Depth=1
	s_or_b64 exec, exec, s[72:73]
.LBB3_216:                              ;   in Loop: Header=BB3_65 Depth=1
	s_or_b64 exec, exec, s[62:63]
.LBB3_217:                              ;   in Loop: Header=BB3_65 Depth=1
	s_or_b64 exec, exec, s[12:13]
	v_cmp_lt_i32_e32 vcc, -1, v59
	s_and_saveexec_b64 s[62:63], vcc
	s_cbranch_execz .LBB3_295
; %bb.218:                              ;   in Loop: Header=BB3_65 Depth=1
	v_cmp_ne_u32_e32 vcc, v59, v0
	v_mov_b32_e32 v40, v0
	s_and_saveexec_b64 s[12:13], vcc
	s_cbranch_execz .LBB3_236
; %bb.219:                              ;   in Loop: Header=BB3_65 Depth=1
	buffer_load_dword v23, off, s[0:3], s32 offset:84 ; 4-byte Folded Reload
	buffer_load_dword v24, off, s[0:3], s32 offset:88 ; 4-byte Folded Reload
	v_mov_b32_e32 v40, v0
	s_waitcnt vmcnt(0)
	flat_load_dword v27, v[23:24]
	s_waitcnt vmcnt(0) lgkmcnt(0)
	v_cmp_ngt_f32_e32 vcc, v27, v16
	s_and_saveexec_b64 s[72:73], vcc
	s_cbranch_execz .LBB3_235
; %bb.220:                              ;   in Loop: Header=BB3_65 Depth=1
	v_add_co_u32_e32 v23, vcc, v1, v59
	v_addc_co_u32_e32 v24, vcc, 0, v2, vcc
	flat_load_ubyte v23, v[23:24]
	v_mov_b32_e32 v40, v0
	s_waitcnt vmcnt(0) lgkmcnt(0)
	v_cmp_eq_u16_e32 vcc, 0, v23
	s_and_saveexec_b64 s[74:75], vcc
	s_cbranch_execz .LBB3_234
; %bb.221:                              ;   in Loop: Header=BB3_65 Depth=1
	v_add_co_u32_e32 v23, vcc, v5, v59
	v_addc_co_u32_e32 v24, vcc, 0, v6, vcc
	flat_load_ubyte v23, v[23:24]
	v_mov_b32_e32 v40, v0
	s_waitcnt vmcnt(0) lgkmcnt(0)
	v_cmp_eq_u16_e32 vcc, 0, v23
	s_and_saveexec_b64 s[76:77], vcc
	s_cbranch_execz .LBB3_233
; %bb.222:                              ;   in Loop: Header=BB3_65 Depth=1
	v_cmp_lt_i32_e32 vcc, v36, v13
	v_mov_b32_e32 v28, v25
	s_and_saveexec_b64 s[78:79], vcc
	s_cbranch_execz .LBB3_230
; %bb.223:                              ;   in Loop: Header=BB3_65 Depth=1
	v_add_u32_e32 v23, v36, v50
	v_ashrrev_i32_e32 v24, 31, v23
	v_lshlrev_b64 v[23:24], 2, v[23:24]
	s_mov_b64 s[88:89], 0
	v_add_co_u32_e32 v51, vcc, v3, v23
	v_addc_co_u32_e32 v52, vcc, v4, v24, vcc
	v_add_co_u32_e32 v53, vcc, v7, v23
	v_addc_co_u32_e32 v54, vcc, v8, v24, vcc
	v_mov_b32_e32 v26, v36
	v_mov_b32_e32 v28, v25
                                        ; implicit-def: $sgpr90_sgpr91
	s_branch .LBB3_226
.LBB3_224:                              ;   in Loop: Header=BB3_226 Depth=2
	s_or_b64 exec, exec, s[30:31]
	s_andn2_b64 s[90:91], s[90:91], exec
	s_and_b64 s[94:95], s[94:95], exec
	s_or_b64 s[90:91], s[90:91], s[94:95]
	v_mov_b32_e32 v40, v26
.LBB3_225:                              ;   in Loop: Header=BB3_226 Depth=2
	s_or_b64 exec, exec, s[92:93]
	v_add_u32_e32 v36, 1, v36
	v_cmp_ge_i32_e32 vcc, v36, v13
	s_xor_b64 s[92:93], s[90:91], -1
	s_or_b64 s[92:93], s[92:93], vcc
	v_add_co_u32_e32 v51, vcc, 4, v51
	v_addc_co_u32_e32 v52, vcc, 0, v52, vcc
	v_add_co_u32_e32 v53, vcc, 4, v53
	s_and_b64 s[92:93], exec, s[92:93]
	v_addc_co_u32_e32 v54, vcc, 0, v54, vcc
	s_or_b64 s[88:89], s[92:93], s[88:89]
	v_mov_b32_e32 v26, v40
	s_andn2_b64 exec, exec, s[88:89]
	s_cbranch_execz .LBB3_229
.LBB3_226:                              ;   Parent Loop BB3_65 Depth=1
                                        ; =>  This Inner Loop Header: Depth=2
	flat_load_dword v23, v[53:54]
	s_andn2_b64 s[90:91], s[90:91], exec
	v_mov_b32_e32 v40, v36
	s_waitcnt vmcnt(0) lgkmcnt(0)
	v_cmp_le_u32_e32 vcc, v23, v59
	s_and_saveexec_b64 s[92:93], vcc
	s_cbranch_execz .LBB3_225
; %bb.227:                              ;   in Loop: Header=BB3_226 Depth=2
	v_cmp_eq_u32_e32 vcc, v23, v59
	s_mov_b64 s[94:95], -1
	s_and_saveexec_b64 s[30:31], vcc
	s_cbranch_execz .LBB3_224
; %bb.228:                              ;   in Loop: Header=BB3_226 Depth=2
	flat_load_dword v28, v[51:52]
	s_xor_b64 s[94:95], exec, -1
	s_branch .LBB3_224
.LBB3_229:                              ;   in Loop: Header=BB3_65 Depth=1
	s_or_b64 exec, exec, s[88:89]
	v_mov_b32_e32 v36, v40
.LBB3_230:                              ;   in Loop: Header=BB3_65 Depth=1
	s_or_b64 exec, exec, s[78:79]
	s_waitcnt vmcnt(0) lgkmcnt(0)
	v_cmp_gt_f32_e32 vcc, v28, v27
	s_and_saveexec_b64 s[78:79], vcc
	s_cbranch_execz .LBB3_232
; %bb.231:                              ;   in Loop: Header=BB3_65 Depth=1
	buffer_load_dword v23, off, s[0:3], s32 offset:84 ; 4-byte Folded Reload
	buffer_load_dword v24, off, s[0:3], s32 offset:88 ; 4-byte Folded Reload
	v_mov_b32_e32 v27, v28
	s_waitcnt vmcnt(0)
	flat_store_dword v[23:24], v28
.LBB3_232:                              ;   in Loop: Header=BB3_65 Depth=1
	s_or_b64 exec, exec, s[78:79]
	v_cmp_lt_f32_e32 vcc, v27, v12
	v_cndmask_b32_e32 v12, v12, v27, vcc
	v_cndmask_b32_e32 v62, v62, v59, vcc
	v_mov_b32_e32 v40, v59
.LBB3_233:                              ;   in Loop: Header=BB3_65 Depth=1
	s_or_b64 exec, exec, s[76:77]
.LBB3_234:                              ;   in Loop: Header=BB3_65 Depth=1
	s_or_b64 exec, exec, s[74:75]
.LBB3_235:                              ;   in Loop: Header=BB3_65 Depth=1
	s_or_b64 exec, exec, s[72:73]
.LBB3_236:                              ;   in Loop: Header=BB3_65 Depth=1
	s_or_b64 exec, exec, s[12:13]
	v_cmp_lt_i32_e32 vcc, -1, v57
	s_and_saveexec_b64 s[72:73], vcc
	s_cbranch_execz .LBB3_294
; %bb.237:                              ;   in Loop: Header=BB3_65 Depth=1
	v_cmp_ne_u32_e32 vcc, v57, v0
	v_mov_b32_e32 v59, v0
	s_and_saveexec_b64 s[12:13], vcc
	s_cbranch_execz .LBB3_255
; %bb.238:                              ;   in Loop: Header=BB3_65 Depth=1
	buffer_load_dword v23, off, s[0:3], s32 offset:92 ; 4-byte Folded Reload
	buffer_load_dword v24, off, s[0:3], s32 offset:96 ; 4-byte Folded Reload
	v_mov_b32_e32 v59, v0
	s_waitcnt vmcnt(0)
	flat_load_dword v27, v[23:24]
	s_waitcnt vmcnt(0) lgkmcnt(0)
	v_cmp_ngt_f32_e32 vcc, v27, v16
	s_and_saveexec_b64 s[74:75], vcc
	s_cbranch_execz .LBB3_254
; %bb.239:                              ;   in Loop: Header=BB3_65 Depth=1
	v_add_co_u32_e32 v23, vcc, v1, v57
	v_addc_co_u32_e32 v24, vcc, 0, v2, vcc
	flat_load_ubyte v23, v[23:24]
	v_mov_b32_e32 v59, v0
	s_waitcnt vmcnt(0) lgkmcnt(0)
	v_cmp_eq_u16_e32 vcc, 0, v23
	s_and_saveexec_b64 s[76:77], vcc
	s_cbranch_execz .LBB3_253
; %bb.240:                              ;   in Loop: Header=BB3_65 Depth=1
	v_add_co_u32_e32 v23, vcc, v5, v57
	v_addc_co_u32_e32 v24, vcc, 0, v6, vcc
	flat_load_ubyte v23, v[23:24]
	v_mov_b32_e32 v59, v0
	s_waitcnt vmcnt(0) lgkmcnt(0)
	v_cmp_eq_u16_e32 vcc, 0, v23
	s_and_saveexec_b64 s[78:79], vcc
	s_cbranch_execz .LBB3_252
; %bb.241:                              ;   in Loop: Header=BB3_65 Depth=1
	v_cmp_lt_i32_e32 vcc, v36, v13
	v_mov_b32_e32 v28, v25
	s_and_saveexec_b64 s[88:89], vcc
	s_cbranch_execz .LBB3_249
; %bb.242:                              ;   in Loop: Header=BB3_65 Depth=1
	v_add_u32_e32 v23, v36, v50
	v_ashrrev_i32_e32 v24, 31, v23
	v_lshlrev_b64 v[23:24], 2, v[23:24]
	s_mov_b64 s[90:91], 0
	v_add_co_u32_e32 v51, vcc, v3, v23
	v_addc_co_u32_e32 v52, vcc, v4, v24, vcc
	v_add_co_u32_e32 v53, vcc, v7, v23
	v_addc_co_u32_e32 v54, vcc, v8, v24, vcc
	v_mov_b32_e32 v26, v36
	v_mov_b32_e32 v28, v25
                                        ; implicit-def: $sgpr92_sgpr93
	s_branch .LBB3_245
.LBB3_243:                              ;   in Loop: Header=BB3_245 Depth=2
	s_or_b64 exec, exec, s[34:35]
	s_andn2_b64 s[92:93], s[92:93], exec
	s_and_b64 vcc, s[30:31], exec
	s_or_b64 s[92:93], s[92:93], vcc
	v_mov_b32_e32 v56, v26
.LBB3_244:                              ;   in Loop: Header=BB3_245 Depth=2
	s_or_b64 exec, exec, s[94:95]
	v_add_u32_e32 v36, 1, v36
	v_cmp_ge_i32_e32 vcc, v36, v13
	s_xor_b64 s[94:95], s[92:93], -1
	s_or_b64 s[94:95], s[94:95], vcc
	v_add_co_u32_e32 v51, vcc, 4, v51
	v_addc_co_u32_e32 v52, vcc, 0, v52, vcc
	v_add_co_u32_e32 v53, vcc, 4, v53
	s_and_b64 s[94:95], exec, s[94:95]
	v_addc_co_u32_e32 v54, vcc, 0, v54, vcc
	s_or_b64 s[90:91], s[94:95], s[90:91]
	v_mov_b32_e32 v26, v56
	s_andn2_b64 exec, exec, s[90:91]
	s_cbranch_execz .LBB3_248
.LBB3_245:                              ;   Parent Loop BB3_65 Depth=1
                                        ; =>  This Inner Loop Header: Depth=2
	flat_load_dword v23, v[53:54]
	s_andn2_b64 s[92:93], s[92:93], exec
	v_mov_b32_e32 v56, v36
	s_waitcnt vmcnt(0) lgkmcnt(0)
	v_cmp_le_u32_e32 vcc, v23, v57
	s_and_saveexec_b64 s[94:95], vcc
	s_cbranch_execz .LBB3_244
; %bb.246:                              ;   in Loop: Header=BB3_245 Depth=2
	v_cmp_eq_u32_e32 vcc, v23, v57
	s_mov_b64 s[30:31], -1
	s_and_saveexec_b64 s[34:35], vcc
	s_cbranch_execz .LBB3_243
; %bb.247:                              ;   in Loop: Header=BB3_245 Depth=2
	flat_load_dword v28, v[51:52]
	s_xor_b64 s[30:31], exec, -1
	s_branch .LBB3_243
.LBB3_248:                              ;   in Loop: Header=BB3_65 Depth=1
	s_or_b64 exec, exec, s[90:91]
	v_mov_b32_e32 v36, v56
.LBB3_249:                              ;   in Loop: Header=BB3_65 Depth=1
	s_or_b64 exec, exec, s[88:89]
	s_waitcnt vmcnt(0) lgkmcnt(0)
	v_cmp_gt_f32_e32 vcc, v28, v27
	s_and_saveexec_b64 s[88:89], vcc
	s_cbranch_execz .LBB3_251
; %bb.250:                              ;   in Loop: Header=BB3_65 Depth=1
	buffer_load_dword v23, off, s[0:3], s32 offset:92 ; 4-byte Folded Reload
	buffer_load_dword v24, off, s[0:3], s32 offset:96 ; 4-byte Folded Reload
	v_mov_b32_e32 v27, v28
	s_waitcnt vmcnt(0)
	flat_store_dword v[23:24], v28
.LBB3_251:                              ;   in Loop: Header=BB3_65 Depth=1
	s_or_b64 exec, exec, s[88:89]
	v_cmp_lt_f32_e32 vcc, v27, v12
	v_cndmask_b32_e32 v12, v12, v27, vcc
	v_cndmask_b32_e32 v62, v62, v57, vcc
	v_mov_b32_e32 v59, v57
.LBB3_252:                              ;   in Loop: Header=BB3_65 Depth=1
	s_or_b64 exec, exec, s[78:79]
.LBB3_253:                              ;   in Loop: Header=BB3_65 Depth=1
	s_or_b64 exec, exec, s[76:77]
.LBB3_254:                              ;   in Loop: Header=BB3_65 Depth=1
	s_or_b64 exec, exec, s[74:75]
.LBB3_255:                              ;   in Loop: Header=BB3_65 Depth=1
	s_or_b64 exec, exec, s[12:13]
	v_cmp_lt_i32_e32 vcc, -1, v44
	s_and_saveexec_b64 s[74:75], vcc
	s_cbranch_execz .LBB3_293
; %bb.256:                              ;   in Loop: Header=BB3_65 Depth=1
	v_cmp_ne_u32_e32 vcc, v44, v0
	v_mov_b32_e32 v57, v0
	s_and_saveexec_b64 s[12:13], vcc
	s_cbranch_execz .LBB3_274
; %bb.257:                              ;   in Loop: Header=BB3_65 Depth=1
	buffer_load_dword v23, off, s[0:3], s32 offset:100 ; 4-byte Folded Reload
	buffer_load_dword v24, off, s[0:3], s32 offset:104 ; 4-byte Folded Reload
	v_mov_b32_e32 v57, v0
	s_waitcnt vmcnt(0)
	flat_load_dword v27, v[23:24]
	s_waitcnt vmcnt(0) lgkmcnt(0)
	v_cmp_ngt_f32_e32 vcc, v27, v16
	s_and_saveexec_b64 s[76:77], vcc
	s_cbranch_execz .LBB3_273
; %bb.258:                              ;   in Loop: Header=BB3_65 Depth=1
	v_add_co_u32_e32 v23, vcc, v1, v44
	v_addc_co_u32_e32 v24, vcc, 0, v2, vcc
	flat_load_ubyte v23, v[23:24]
	v_mov_b32_e32 v57, v0
	s_waitcnt vmcnt(0) lgkmcnt(0)
	v_cmp_eq_u16_e32 vcc, 0, v23
	s_and_saveexec_b64 s[78:79], vcc
	s_cbranch_execz .LBB3_272
; %bb.259:                              ;   in Loop: Header=BB3_65 Depth=1
	v_add_co_u32_e32 v23, vcc, v5, v44
	v_addc_co_u32_e32 v24, vcc, 0, v6, vcc
	flat_load_ubyte v23, v[23:24]
	v_mov_b32_e32 v57, v0
	s_waitcnt vmcnt(0) lgkmcnt(0)
	v_cmp_eq_u16_e32 vcc, 0, v23
	s_and_saveexec_b64 s[88:89], vcc
	s_cbranch_execz .LBB3_271
; %bb.260:                              ;   in Loop: Header=BB3_65 Depth=1
	v_cmp_lt_i32_e32 vcc, v36, v13
	v_mov_b32_e32 v28, v25
	s_and_saveexec_b64 s[90:91], vcc
	s_cbranch_execz .LBB3_268
; %bb.261:                              ;   in Loop: Header=BB3_65 Depth=1
	v_add_u32_e32 v23, v36, v50
	v_ashrrev_i32_e32 v24, 31, v23
	v_lshlrev_b64 v[23:24], 2, v[23:24]
	s_mov_b64 s[92:93], 0
	v_add_co_u32_e32 v51, vcc, v3, v23
	v_addc_co_u32_e32 v52, vcc, v4, v24, vcc
	v_add_co_u32_e32 v53, vcc, v7, v23
	v_addc_co_u32_e32 v54, vcc, v8, v24, vcc
	v_mov_b32_e32 v26, v36
	v_mov_b32_e32 v28, v25
                                        ; implicit-def: $sgpr94_sgpr95
	s_branch .LBB3_264
.LBB3_262:                              ;   in Loop: Header=BB3_264 Depth=2
	s_or_b64 exec, exec, vcc
	s_andn2_b64 s[94:95], s[94:95], exec
	s_and_b64 vcc, s[34:35], exec
	s_or_b64 s[94:95], s[94:95], vcc
	v_mov_b32_e32 v56, v26
.LBB3_263:                              ;   in Loop: Header=BB3_264 Depth=2
	s_or_b64 exec, exec, s[30:31]
	v_add_u32_e32 v36, 1, v36
	v_cmp_ge_i32_e32 vcc, v36, v13
	s_xor_b64 s[30:31], s[94:95], -1
	s_or_b64 s[30:31], s[30:31], vcc
	v_add_co_u32_e32 v51, vcc, 4, v51
	v_addc_co_u32_e32 v52, vcc, 0, v52, vcc
	v_add_co_u32_e32 v53, vcc, 4, v53
	v_addc_co_u32_e32 v54, vcc, 0, v54, vcc
	s_and_b64 vcc, exec, s[30:31]
	s_or_b64 s[92:93], vcc, s[92:93]
	v_mov_b32_e32 v26, v56
	s_andn2_b64 exec, exec, s[92:93]
	s_cbranch_execz .LBB3_267
.LBB3_264:                              ;   Parent Loop BB3_65 Depth=1
                                        ; =>  This Inner Loop Header: Depth=2
	flat_load_dword v23, v[53:54]
	s_andn2_b64 s[94:95], s[94:95], exec
	v_mov_b32_e32 v56, v36
	s_waitcnt vmcnt(0) lgkmcnt(0)
	v_cmp_le_u32_e32 vcc, v23, v44
	s_and_saveexec_b64 s[30:31], vcc
	s_cbranch_execz .LBB3_263
; %bb.265:                              ;   in Loop: Header=BB3_264 Depth=2
	v_cmp_eq_u32_e32 vcc, v23, v44
	s_mov_b64 s[34:35], -1
	s_and_saveexec_b64 s[38:39], vcc
	s_mov_b64 vcc, s[38:39]
	s_cbranch_execz .LBB3_262
; %bb.266:                              ;   in Loop: Header=BB3_264 Depth=2
	flat_load_dword v28, v[51:52]
	s_xor_b64 s[34:35], exec, -1
	s_branch .LBB3_262
.LBB3_267:                              ;   in Loop: Header=BB3_65 Depth=1
	s_or_b64 exec, exec, s[92:93]
	v_mov_b32_e32 v36, v56
.LBB3_268:                              ;   in Loop: Header=BB3_65 Depth=1
	s_or_b64 exec, exec, s[90:91]
	s_waitcnt vmcnt(0) lgkmcnt(0)
	v_cmp_gt_f32_e32 vcc, v28, v27
	s_and_saveexec_b64 s[90:91], vcc
	s_cbranch_execz .LBB3_270
; %bb.269:                              ;   in Loop: Header=BB3_65 Depth=1
	buffer_load_dword v23, off, s[0:3], s32 offset:100 ; 4-byte Folded Reload
	buffer_load_dword v24, off, s[0:3], s32 offset:104 ; 4-byte Folded Reload
	v_mov_b32_e32 v27, v28
	s_waitcnt vmcnt(0)
	flat_store_dword v[23:24], v28
.LBB3_270:                              ;   in Loop: Header=BB3_65 Depth=1
	s_or_b64 exec, exec, s[90:91]
	v_cmp_lt_f32_e32 vcc, v27, v12
	v_cndmask_b32_e32 v12, v12, v27, vcc
	v_cndmask_b32_e32 v62, v62, v44, vcc
	v_mov_b32_e32 v57, v44
.LBB3_271:                              ;   in Loop: Header=BB3_65 Depth=1
	s_or_b64 exec, exec, s[88:89]
.LBB3_272:                              ;   in Loop: Header=BB3_65 Depth=1
	s_or_b64 exec, exec, s[78:79]
.LBB3_273:                              ;   in Loop: Header=BB3_65 Depth=1
	s_or_b64 exec, exec, s[76:77]
.LBB3_274:                              ;   in Loop: Header=BB3_65 Depth=1
	s_or_b64 exec, exec, s[12:13]
	v_cmp_lt_i32_e32 vcc, -1, v43
	v_cmp_ne_u32_e64 s[12:13], v43, v0
	s_and_b64 s[76:77], vcc, s[12:13]
	s_and_saveexec_b64 s[12:13], s[76:77]
	s_cbranch_execz .LBB3_292
; %bb.275:                              ;   in Loop: Header=BB3_65 Depth=1
	buffer_load_dword v23, off, s[0:3], s32 offset:108 ; 4-byte Folded Reload
	buffer_load_dword v24, off, s[0:3], s32 offset:112 ; 4-byte Folded Reload
	v_mov_b32_e32 v26, v0
	s_waitcnt vmcnt(0)
	flat_load_dword v27, v[23:24]
	s_waitcnt vmcnt(0) lgkmcnt(0)
	v_cmp_ngt_f32_e32 vcc, v27, v16
	s_and_saveexec_b64 s[76:77], vcc
	s_cbranch_execz .LBB3_291
; %bb.276:                              ;   in Loop: Header=BB3_65 Depth=1
	v_add_co_u32_e32 v23, vcc, v1, v43
	v_addc_co_u32_e32 v24, vcc, 0, v2, vcc
	flat_load_ubyte v23, v[23:24]
	v_mov_b32_e32 v26, v0
	s_waitcnt vmcnt(0) lgkmcnt(0)
	v_cmp_eq_u16_e32 vcc, 0, v23
	s_and_saveexec_b64 s[78:79], vcc
	s_cbranch_execz .LBB3_290
; %bb.277:                              ;   in Loop: Header=BB3_65 Depth=1
	v_add_co_u32_e32 v23, vcc, v5, v43
	v_addc_co_u32_e32 v24, vcc, 0, v6, vcc
	flat_load_ubyte v23, v[23:24]
	v_mov_b32_e32 v26, v0
	s_waitcnt vmcnt(0) lgkmcnt(0)
	v_cmp_eq_u16_e32 vcc, 0, v23
	s_and_saveexec_b64 s[88:89], vcc
	s_cbranch_execz .LBB3_289
; %bb.278:                              ;   in Loop: Header=BB3_65 Depth=1
	v_cmp_lt_i32_e32 vcc, v36, v13
	v_mov_b32_e32 v28, v25
	s_and_saveexec_b64 s[90:91], vcc
	s_cbranch_execz .LBB3_286
; %bb.279:                              ;   in Loop: Header=BB3_65 Depth=1
	v_add_u32_e32 v23, v36, v50
	v_ashrrev_i32_e32 v24, 31, v23
	v_lshlrev_b64 v[23:24], 2, v[23:24]
	s_mov_b64 s[92:93], 0
	v_add_co_u32_e32 v51, vcc, v3, v23
	v_addc_co_u32_e32 v52, vcc, v4, v24, vcc
	v_add_co_u32_e32 v53, vcc, v7, v23
	v_addc_co_u32_e32 v54, vcc, v8, v24, vcc
	v_mov_b32_e32 v26, v36
	v_mov_b32_e32 v28, v25
                                        ; implicit-def: $sgpr94_sgpr95
	s_branch .LBB3_282
.LBB3_280:                              ;   in Loop: Header=BB3_282 Depth=2
	s_or_b64 exec, exec, vcc
	s_andn2_b64 s[94:95], s[94:95], exec
	s_and_b64 vcc, s[34:35], exec
	s_or_b64 s[94:95], s[94:95], vcc
	v_mov_b32_e32 v44, v26
.LBB3_281:                              ;   in Loop: Header=BB3_282 Depth=2
	s_or_b64 exec, exec, s[30:31]
	v_add_u32_e32 v36, 1, v36
	v_cmp_ge_i32_e32 vcc, v36, v13
	s_xor_b64 s[30:31], s[94:95], -1
	s_or_b64 s[30:31], s[30:31], vcc
	v_add_co_u32_e32 v51, vcc, 4, v51
	v_addc_co_u32_e32 v52, vcc, 0, v52, vcc
	v_add_co_u32_e32 v53, vcc, 4, v53
	v_addc_co_u32_e32 v54, vcc, 0, v54, vcc
	s_and_b64 vcc, exec, s[30:31]
	s_or_b64 s[92:93], vcc, s[92:93]
	v_mov_b32_e32 v26, v44
	s_andn2_b64 exec, exec, s[92:93]
	s_cbranch_execz .LBB3_285
.LBB3_282:                              ;   Parent Loop BB3_65 Depth=1
                                        ; =>  This Inner Loop Header: Depth=2
	flat_load_dword v23, v[53:54]
	s_andn2_b64 s[94:95], s[94:95], exec
	v_mov_b32_e32 v44, v36
	s_waitcnt vmcnt(0) lgkmcnt(0)
	v_cmp_le_u32_e32 vcc, v23, v43
	s_and_saveexec_b64 s[30:31], vcc
	s_cbranch_execz .LBB3_281
; %bb.283:                              ;   in Loop: Header=BB3_282 Depth=2
	v_cmp_eq_u32_e32 vcc, v23, v43
	s_mov_b64 s[34:35], -1
	s_and_saveexec_b64 s[38:39], vcc
	s_mov_b64 vcc, s[38:39]
	s_cbranch_execz .LBB3_280
; %bb.284:                              ;   in Loop: Header=BB3_282 Depth=2
	flat_load_dword v28, v[51:52]
	s_xor_b64 s[34:35], exec, -1
	s_branch .LBB3_280
.LBB3_285:                              ;   in Loop: Header=BB3_65 Depth=1
	s_or_b64 exec, exec, s[92:93]
	v_mov_b32_e32 v36, v44
.LBB3_286:                              ;   in Loop: Header=BB3_65 Depth=1
	s_or_b64 exec, exec, s[90:91]
	s_waitcnt vmcnt(0) lgkmcnt(0)
	v_cmp_gt_f32_e32 vcc, v28, v27
	s_and_saveexec_b64 s[90:91], vcc
	s_cbranch_execz .LBB3_288
; %bb.287:                              ;   in Loop: Header=BB3_65 Depth=1
	buffer_load_dword v23, off, s[0:3], s32 offset:108 ; 4-byte Folded Reload
	buffer_load_dword v24, off, s[0:3], s32 offset:112 ; 4-byte Folded Reload
	v_mov_b32_e32 v27, v28
	s_waitcnt vmcnt(0)
	flat_store_dword v[23:24], v28
.LBB3_288:                              ;   in Loop: Header=BB3_65 Depth=1
	s_or_b64 exec, exec, s[90:91]
	v_cmp_lt_f32_e32 vcc, v27, v12
	v_cndmask_b32_e32 v12, v12, v27, vcc
	v_cndmask_b32_e32 v62, v62, v43, vcc
	v_mov_b32_e32 v26, v43
.LBB3_289:                              ;   in Loop: Header=BB3_65 Depth=1
	s_or_b64 exec, exec, s[88:89]
.LBB3_290:                              ;   in Loop: Header=BB3_65 Depth=1
	s_or_b64 exec, exec, s[78:79]
.LBB3_291:                              ;   in Loop: Header=BB3_65 Depth=1
	s_or_b64 exec, exec, s[76:77]
	v_mov_b32_e32 v43, v26
.LBB3_292:                              ;   in Loop: Header=BB3_65 Depth=1
	s_or_b64 exec, exec, s[12:13]
	v_mov_b32_e32 v44, v57
.LBB3_293:                              ;   in Loop: Header=BB3_65 Depth=1
	s_or_b64 exec, exec, s[74:75]
	v_mov_b32_e32 v57, v59
.LBB3_294:                              ;   in Loop: Header=BB3_65 Depth=1
	s_or_b64 exec, exec, s[72:73]
	v_mov_b32_e32 v59, v40
.LBB3_295:                              ;   in Loop: Header=BB3_65 Depth=1
	s_or_b64 exec, exec, s[62:63]
	v_mov_b32_e32 v60, v39
.LBB3_296:                              ;   in Loop: Header=BB3_65 Depth=1
	s_or_b64 exec, exec, s[60:61]
	v_mov_b32_e32 v61, v34
.LBB3_297:                              ;   in Loop: Header=BB3_65 Depth=1
	s_or_b64 exec, exec, s[58:59]
	v_mov_b32_e32 v34, v31
.LBB3_298:                              ;   in Loop: Header=BB3_65 Depth=1
	s_or_b64 exec, exec, s[56:57]
	v_mov_b32_e32 v31, v35
.LBB3_299:                              ;   in Loop: Header=BB3_65 Depth=1
	s_or_b64 exec, exec, s[46:47]
	v_mov_b32_e32 v35, v29
.LBB3_300:                              ;   in Loop: Header=BB3_65 Depth=1
	s_or_b64 exec, exec, s[44:45]
	v_mov_b32_e32 v29, v30
.LBB3_301:                              ;   in Loop: Header=BB3_65 Depth=1
	s_or_b64 exec, exec, s[42:43]
	v_mov_b32_e32 v30, v33
.LBB3_302:                              ;   in Loop: Header=BB3_65 Depth=1
	s_or_b64 exec, exec, s[40:41]
	v_mov_b32_e32 v23, v32
.LBB3_303:                              ;   in Loop: Header=BB3_65 Depth=1
	s_or_b64 exec, exec, s[28:29]
	s_waitcnt vmcnt(0) lgkmcnt(0)
	s_barrier
	s_and_saveexec_b64 s[12:13], s[8:9]
	s_cbranch_execz .LBB3_327
; %bb.304:                              ;   in Loop: Header=BB3_65 Depth=1
	s_mov_b64 s[28:29], 0
	v_mov_b32_e32 v32, 12
	v_mov_b32_e32 v51, v45
                                        ; implicit-def: $sgpr40_sgpr41
	s_branch .LBB3_311
.LBB3_305:                              ;   in Loop: Header=BB3_311 Depth=2
	s_or_b64 exec, exec, s[60:61]
	v_cmp_lt_f32_e32 vcc, v28, v12
	v_cndmask_b32_e32 v12, v12, v28, vcc
	v_cndmask_b32_e32 v62, v62, v27, vcc
.LBB3_306:                              ;   in Loop: Header=BB3_311 Depth=2
	s_or_b64 exec, exec, s[58:59]
.LBB3_307:                              ;   in Loop: Header=BB3_311 Depth=2
	s_or_b64 exec, exec, s[56:57]
.LBB3_308:                              ;   in Loop: Header=BB3_311 Depth=2
	s_or_b64 exec, exec, s[46:47]
.LBB3_309:                              ;   in Loop: Header=BB3_311 Depth=2
	s_or_b64 exec, exec, s[44:45]
	v_add_u32_e32 v32, 1, v32
	v_mul_lo_u32 v24, v32, s14
	s_andn2_b64 s[40:41], s[40:41], exec
	v_add_u32_e32 v51, v24, v55
	v_cmp_ge_i32_e32 vcc, v51, v13
	s_and_b64 s[44:45], vcc, exec
	s_or_b64 s[40:41], s[40:41], s[44:45]
.LBB3_310:                              ;   in Loop: Header=BB3_311 Depth=2
	s_or_b64 exec, exec, s[42:43]
	s_and_b64 s[42:43], exec, s[40:41]
	s_or_b64 s[28:29], s[42:43], s[28:29]
	s_andn2_b64 exec, exec, s[28:29]
	s_cbranch_execz .LBB3_326
.LBB3_311:                              ;   Parent Loop BB3_65 Depth=1
                                        ; =>  This Loop Header: Depth=2
                                        ;       Child Loop BB3_320 Depth 3
	v_add_u32_e32 v26, v51, v42
	v_ashrrev_i32_e32 v27, 31, v26
	v_lshlrev_b64 v[26:27], 2, v[26:27]
	s_or_b64 s[40:41], s[40:41], exec
	v_add_co_u32_e32 v26, vcc, v7, v26
	v_addc_co_u32_e32 v27, vcc, v8, v27, vcc
	flat_load_dword v27, v[26:27]
	s_waitcnt vmcnt(0) lgkmcnt(0)
	v_cmp_lt_i32_e32 vcc, -1, v27
	s_and_saveexec_b64 s[42:43], vcc
	s_cbranch_execz .LBB3_310
; %bb.312:                              ;   in Loop: Header=BB3_311 Depth=2
	v_cmp_ne_u32_e32 vcc, v27, v0
	s_and_saveexec_b64 s[44:45], vcc
	s_cbranch_execz .LBB3_309
; %bb.313:                              ;   in Loop: Header=BB3_311 Depth=2
	v_ashrrev_i32_e32 v52, 31, v51
	v_lshlrev_b64 v[51:52], 2, v[51:52]
	v_add_co_u32_e32 v51, vcc, v9, v51
	v_addc_co_u32_e32 v52, vcc, v10, v52, vcc
	flat_load_dword v28, v[51:52]
	s_waitcnt vmcnt(0) lgkmcnt(0)
	v_cmp_ngt_f32_e32 vcc, v28, v16
	s_and_saveexec_b64 s[46:47], vcc
	s_cbranch_execz .LBB3_308
; %bb.314:                              ;   in Loop: Header=BB3_311 Depth=2
	v_add_co_u32_e32 v53, vcc, v1, v27
	v_addc_co_u32_e32 v54, vcc, 0, v2, vcc
	flat_load_ubyte v24, v[53:54]
	s_waitcnt vmcnt(0) lgkmcnt(0)
	v_cmp_eq_u16_e32 vcc, 0, v24
	s_and_saveexec_b64 s[56:57], vcc
	s_cbranch_execz .LBB3_307
; %bb.315:                              ;   in Loop: Header=BB3_311 Depth=2
	v_add_co_u32_e32 v53, vcc, v5, v27
	v_addc_co_u32_e32 v54, vcc, 0, v6, vcc
	flat_load_ubyte v24, v[53:54]
	s_waitcnt vmcnt(0) lgkmcnt(0)
	v_cmp_eq_u16_e32 vcc, 0, v24
	s_and_saveexec_b64 s[58:59], vcc
	s_cbranch_execz .LBB3_306
; %bb.316:                              ;   in Loop: Header=BB3_311 Depth=2
	v_cmp_lt_i32_e32 vcc, v36, v13
	v_mov_b32_e32 v56, v25
	s_and_saveexec_b64 s[60:61], vcc
	s_cbranch_execz .LBB3_324
; %bb.317:                              ;   in Loop: Header=BB3_311 Depth=2
	v_add_u32_e32 v53, v50, v36
	v_ashrrev_i32_e32 v54, 31, v53
	v_lshlrev_b64 v[39:40], 2, v[53:54]
	s_mov_b64 s[62:63], 0
	v_add_co_u32_e32 v53, vcc, v3, v39
	v_addc_co_u32_e32 v54, vcc, v4, v40, vcc
	v_add_co_u32_e32 v39, vcc, v7, v39
	v_addc_co_u32_e32 v40, vcc, v8, v40, vcc
	v_mov_b32_e32 v26, v36
	v_mov_b32_e32 v56, v25
                                        ; implicit-def: $sgpr72_sgpr73
	s_branch .LBB3_320
.LBB3_318:                              ;   in Loop: Header=BB3_320 Depth=3
	s_or_b64 exec, exec, s[78:79]
	s_andn2_b64 s[72:73], s[72:73], exec
	s_and_b64 s[76:77], s[76:77], exec
	s_or_b64 s[72:73], s[72:73], s[76:77]
	v_mov_b32_e32 v33, v26
.LBB3_319:                              ;   in Loop: Header=BB3_320 Depth=3
	s_or_b64 exec, exec, s[74:75]
	v_add_u32_e32 v36, 1, v36
	v_cmp_ge_i32_e32 vcc, v36, v13
	s_xor_b64 s[74:75], s[72:73], -1
	s_or_b64 s[74:75], s[74:75], vcc
	v_add_co_u32_e32 v53, vcc, 4, v53
	v_addc_co_u32_e32 v54, vcc, 0, v54, vcc
	v_add_co_u32_e32 v39, vcc, 4, v39
	s_and_b64 s[74:75], exec, s[74:75]
	v_addc_co_u32_e32 v40, vcc, 0, v40, vcc
	s_or_b64 s[62:63], s[74:75], s[62:63]
	v_mov_b32_e32 v26, v33
	s_andn2_b64 exec, exec, s[62:63]
	s_cbranch_execz .LBB3_323
.LBB3_320:                              ;   Parent Loop BB3_65 Depth=1
                                        ;     Parent Loop BB3_311 Depth=2
                                        ; =>    This Inner Loop Header: Depth=3
	flat_load_dword v24, v[39:40]
	s_andn2_b64 s[72:73], s[72:73], exec
	v_mov_b32_e32 v33, v36
	s_waitcnt vmcnt(0) lgkmcnt(0)
	v_cmp_le_u32_e32 vcc, v24, v27
	s_and_saveexec_b64 s[74:75], vcc
	s_cbranch_execz .LBB3_319
; %bb.321:                              ;   in Loop: Header=BB3_320 Depth=3
	v_cmp_eq_u32_e32 vcc, v24, v27
	s_mov_b64 s[76:77], -1
	s_and_saveexec_b64 s[78:79], vcc
	s_cbranch_execz .LBB3_318
; %bb.322:                              ;   in Loop: Header=BB3_320 Depth=3
	flat_load_dword v56, v[53:54]
	s_xor_b64 s[76:77], exec, -1
	s_branch .LBB3_318
.LBB3_323:                              ;   in Loop: Header=BB3_311 Depth=2
	s_or_b64 exec, exec, s[62:63]
	v_mov_b32_e32 v36, v33
.LBB3_324:                              ;   in Loop: Header=BB3_311 Depth=2
	s_or_b64 exec, exec, s[60:61]
	s_waitcnt vmcnt(0) lgkmcnt(0)
	v_cmp_gt_f32_e32 vcc, v56, v28
	s_and_saveexec_b64 s[60:61], vcc
	s_cbranch_execz .LBB3_305
; %bb.325:                              ;   in Loop: Header=BB3_311 Depth=2
	v_mov_b32_e32 v28, v56
	flat_store_dword v[51:52], v56
	s_branch .LBB3_305
.LBB3_326:                              ;   in Loop: Header=BB3_65 Depth=1
	s_or_b64 exec, exec, s[28:29]
.LBB3_327:                              ;   in Loop: Header=BB3_65 Depth=1
	s_or_b64 exec, exec, s[12:13]
	v_add_u32_e32 v24, 0x100, v41
	s_waitcnt vmcnt(0) lgkmcnt(0)
	s_barrier
	ds_write_b32 v41, v12
	ds_write_b32 v24, v62
	s_waitcnt lgkmcnt(0)
	s_barrier
	s_and_saveexec_b64 s[12:13], s[4:5]
	s_cbranch_execz .LBB3_379
; %bb.328:                              ;   in Loop: Header=BB3_65 Depth=1
	s_andn2_b64 vcc, exec, s[22:23]
	s_cbranch_vccnz .LBB3_377
; %bb.329:                              ;   in Loop: Header=BB3_65 Depth=1
	ds_read_b32 v32, v47 offset:256
	s_mov_b32 s19, 1
	s_andn2_b64 vcc, exec, s[24:25]
	s_cbranch_vccnz .LBB3_366
; %bb.330:                              ;   in Loop: Header=BB3_65 Depth=1
	s_mov_b32 s44, 0
	s_mov_b32 s19, 4
.LBB3_331:                              ;   Parent Loop BB3_65 Depth=1
                                        ; =>  This Inner Loop Header: Depth=2
	v_mov_b32_e32 v24, s19
	ds_read_b32 v26, v24
	s_mov_b64 s[28:29], 0
                                        ; implicit-def: $vgpr27
	s_waitcnt lgkmcnt(0)
	v_cmp_nlt_f32_e32 vcc, v26, v12
	s_and_saveexec_b64 s[40:41], vcc
	s_xor_b64 s[40:41], exec, s[40:41]
	s_cbranch_execnz .LBB3_349
; %bb.332:                              ;   in Loop: Header=BB3_331 Depth=2
	s_andn2_saveexec_b64 s[40:41], s[40:41]
	s_cbranch_execnz .LBB3_352
.LBB3_333:                              ;   in Loop: Header=BB3_331 Depth=2
	s_or_b64 exec, exec, s[40:41]
	s_and_saveexec_b64 s[40:41], s[28:29]
	s_cbranch_execz .LBB3_335
.LBB3_334:                              ;   in Loop: Header=BB3_331 Depth=2
	s_waitcnt lgkmcnt(0)
	v_mov_b32_e32 v32, v27
	v_mov_b32_e32 v12, v26
	ds_write_b32 v47, v27 offset:256
.LBB3_335:                              ;   in Loop: Header=BB3_331 Depth=2
	s_or_b64 exec, exec, s[40:41]
	v_mov_b32_e32 v24, s19
	ds_read_b32 v26, v24 offset:4
	s_mov_b64 s[28:29], 0
                                        ; implicit-def: $vgpr27
	s_waitcnt lgkmcnt(0)
	v_cmp_nlt_f32_e32 vcc, v26, v12
	s_and_saveexec_b64 s[40:41], vcc
	s_xor_b64 s[40:41], exec, s[40:41]
	s_cbranch_execnz .LBB3_353
; %bb.336:                              ;   in Loop: Header=BB3_331 Depth=2
	s_andn2_saveexec_b64 s[40:41], s[40:41]
	s_cbranch_execnz .LBB3_356
.LBB3_337:                              ;   in Loop: Header=BB3_331 Depth=2
	s_or_b64 exec, exec, s[40:41]
	s_and_saveexec_b64 s[40:41], s[28:29]
	s_cbranch_execz .LBB3_339
.LBB3_338:                              ;   in Loop: Header=BB3_331 Depth=2
	s_waitcnt lgkmcnt(0)
	v_mov_b32_e32 v32, v27
	v_mov_b32_e32 v12, v26
	ds_write_b32 v47, v27 offset:256
.LBB3_339:                              ;   in Loop: Header=BB3_331 Depth=2
	s_or_b64 exec, exec, s[40:41]
	v_mov_b32_e32 v24, s19
	ds_read_b32 v26, v24 offset:8
	s_mov_b64 s[28:29], 0
                                        ; implicit-def: $vgpr27
	s_waitcnt lgkmcnt(0)
	v_cmp_nlt_f32_e32 vcc, v26, v12
	s_and_saveexec_b64 s[40:41], vcc
	s_xor_b64 s[40:41], exec, s[40:41]
	s_cbranch_execnz .LBB3_357
; %bb.340:                              ;   in Loop: Header=BB3_331 Depth=2
	s_andn2_saveexec_b64 s[40:41], s[40:41]
	s_cbranch_execnz .LBB3_360
.LBB3_341:                              ;   in Loop: Header=BB3_331 Depth=2
	s_or_b64 exec, exec, s[40:41]
	s_and_saveexec_b64 s[40:41], s[28:29]
	s_cbranch_execz .LBB3_343
.LBB3_342:                              ;   in Loop: Header=BB3_331 Depth=2
	s_waitcnt lgkmcnt(0)
	v_mov_b32_e32 v32, v27
	v_mov_b32_e32 v12, v26
	ds_write_b32 v47, v27 offset:256
.LBB3_343:                              ;   in Loop: Header=BB3_331 Depth=2
	s_or_b64 exec, exec, s[40:41]
	v_mov_b32_e32 v24, s19
	ds_read_b32 v26, v24 offset:12
	s_mov_b64 s[28:29], 0
                                        ; implicit-def: $vgpr27
	s_waitcnt lgkmcnt(0)
	v_cmp_nlt_f32_e32 vcc, v26, v12
	s_and_saveexec_b64 s[40:41], vcc
	s_xor_b64 s[40:41], exec, s[40:41]
	s_cbranch_execnz .LBB3_361
; %bb.344:                              ;   in Loop: Header=BB3_331 Depth=2
	s_andn2_saveexec_b64 s[40:41], s[40:41]
	s_cbranch_execnz .LBB3_364
.LBB3_345:                              ;   in Loop: Header=BB3_331 Depth=2
	s_or_b64 exec, exec, s[40:41]
	s_and_saveexec_b64 s[40:41], s[28:29]
	s_cbranch_execz .LBB3_347
.LBB3_346:                              ;   in Loop: Header=BB3_331 Depth=2
	s_waitcnt lgkmcnt(0)
	v_mov_b32_e32 v32, v27
	v_mov_b32_e32 v12, v26
	ds_write_b32 v47, v27 offset:256
.LBB3_347:                              ;   in Loop: Header=BB3_331 Depth=2
	s_or_b64 exec, exec, s[40:41]
	s_add_i32 s28, s44, 4
	s_add_i32 s19, s19, 16
	s_cmp_eq_u32 s36, s28
	s_cbranch_scc1 .LBB3_365
; %bb.348:                              ;   in Loop: Header=BB3_331 Depth=2
	s_mov_b32 s44, s28
	s_branch .LBB3_331
.LBB3_349:                              ;   in Loop: Header=BB3_331 Depth=2
	v_cmp_eq_f32_e32 vcc, v26, v12
                                        ; implicit-def: $vgpr27
	s_and_saveexec_b64 s[42:43], vcc
	s_xor_b64 s[42:43], exec, s[42:43]
	s_cbranch_execz .LBB3_351
; %bb.350:                              ;   in Loop: Header=BB3_331 Depth=2
	v_mov_b32_e32 v24, s19
	ds_read_b32 v27, v24 offset:256
	s_waitcnt lgkmcnt(0)
	v_cmp_lt_i32_e32 vcc, v27, v32
	s_and_b64 s[28:29], vcc, exec
.LBB3_351:                              ;   in Loop: Header=BB3_331 Depth=2
	s_or_b64 exec, exec, s[42:43]
	s_and_b64 s[28:29], s[28:29], exec
	s_andn2_saveexec_b64 s[40:41], s[40:41]
	s_cbranch_execz .LBB3_333
.LBB3_352:                              ;   in Loop: Header=BB3_331 Depth=2
	v_mov_b32_e32 v24, s19
	ds_read_b32 v27, v24 offset:256
	s_or_b64 s[28:29], s[28:29], exec
	s_or_b64 exec, exec, s[40:41]
	s_and_saveexec_b64 s[40:41], s[28:29]
	s_cbranch_execnz .LBB3_334
	s_branch .LBB3_335
.LBB3_353:                              ;   in Loop: Header=BB3_331 Depth=2
	v_cmp_eq_f32_e32 vcc, v26, v12
                                        ; implicit-def: $vgpr27
	s_and_saveexec_b64 s[42:43], vcc
	s_cbranch_execz .LBB3_355
; %bb.354:                              ;   in Loop: Header=BB3_331 Depth=2
	v_mov_b32_e32 v24, s19
	ds_read_b32 v27, v24 offset:260
	s_waitcnt lgkmcnt(0)
	v_cmp_lt_i32_e32 vcc, v27, v32
	s_and_b64 s[28:29], vcc, exec
.LBB3_355:                              ;   in Loop: Header=BB3_331 Depth=2
	s_or_b64 exec, exec, s[42:43]
	s_and_b64 s[28:29], s[28:29], exec
	s_andn2_saveexec_b64 s[40:41], s[40:41]
	s_cbranch_execz .LBB3_337
.LBB3_356:                              ;   in Loop: Header=BB3_331 Depth=2
	v_mov_b32_e32 v24, s19
	ds_read_b32 v27, v24 offset:260
	s_or_b64 s[28:29], s[28:29], exec
	s_or_b64 exec, exec, s[40:41]
	s_and_saveexec_b64 s[40:41], s[28:29]
	s_cbranch_execnz .LBB3_338
	s_branch .LBB3_339
.LBB3_357:                              ;   in Loop: Header=BB3_331 Depth=2
	v_cmp_eq_f32_e32 vcc, v26, v12
                                        ; implicit-def: $vgpr27
	s_and_saveexec_b64 s[42:43], vcc
	s_cbranch_execz .LBB3_359
; %bb.358:                              ;   in Loop: Header=BB3_331 Depth=2
	v_mov_b32_e32 v24, s19
	ds_read_b32 v27, v24 offset:264
	s_waitcnt lgkmcnt(0)
	v_cmp_lt_i32_e32 vcc, v27, v32
	s_and_b64 s[28:29], vcc, exec
.LBB3_359:                              ;   in Loop: Header=BB3_331 Depth=2
	s_or_b64 exec, exec, s[42:43]
	s_and_b64 s[28:29], s[28:29], exec
	s_andn2_saveexec_b64 s[40:41], s[40:41]
	s_cbranch_execz .LBB3_341
.LBB3_360:                              ;   in Loop: Header=BB3_331 Depth=2
	v_mov_b32_e32 v24, s19
	ds_read_b32 v27, v24 offset:264
	s_or_b64 s[28:29], s[28:29], exec
	s_or_b64 exec, exec, s[40:41]
	s_and_saveexec_b64 s[40:41], s[28:29]
	s_cbranch_execnz .LBB3_342
	s_branch .LBB3_343
.LBB3_361:                              ;   in Loop: Header=BB3_331 Depth=2
	v_cmp_eq_f32_e32 vcc, v26, v12
                                        ; implicit-def: $vgpr27
	s_and_saveexec_b64 s[42:43], vcc
	s_cbranch_execz .LBB3_363
; %bb.362:                              ;   in Loop: Header=BB3_331 Depth=2
	v_mov_b32_e32 v24, s19
	ds_read_b32 v27, v24 offset:268
	s_waitcnt lgkmcnt(0)
	v_cmp_lt_i32_e32 vcc, v27, v32
	s_and_b64 s[28:29], vcc, exec
.LBB3_363:                              ;   in Loop: Header=BB3_331 Depth=2
	s_or_b64 exec, exec, s[42:43]
	s_and_b64 s[28:29], s[28:29], exec
	s_andn2_saveexec_b64 s[40:41], s[40:41]
	s_cbranch_execz .LBB3_345
.LBB3_364:                              ;   in Loop: Header=BB3_331 Depth=2
	v_mov_b32_e32 v24, s19
	ds_read_b32 v27, v24 offset:268
	s_or_b64 s[28:29], s[28:29], exec
	s_or_b64 exec, exec, s[40:41]
	s_and_saveexec_b64 s[40:41], s[28:29]
	s_cbranch_execnz .LBB3_346
	s_branch .LBB3_347
.LBB3_365:                              ;   in Loop: Header=BB3_65 Depth=1
	s_add_i32 s19, s44, 5
.LBB3_366:                              ;   in Loop: Header=BB3_65 Depth=1
	s_andn2_b64 vcc, exec, s[26:27]
	s_cbranch_vccnz .LBB3_377
; %bb.367:                              ;   in Loop: Header=BB3_65 Depth=1
	s_lshl_b32 s19, s19, 2
	s_mov_b32 s44, s15
	s_branch .LBB3_369
.LBB3_368:                              ;   in Loop: Header=BB3_369 Depth=2
	s_or_b64 exec, exec, s[40:41]
	s_add_i32 s19, s19, 4
	s_add_i32 s44, s44, -1
	s_cmp_lg_u32 s44, 0
	s_cbranch_scc0 .LBB3_377
.LBB3_369:                              ;   Parent Loop BB3_65 Depth=1
                                        ; =>  This Inner Loop Header: Depth=2
	v_mov_b32_e32 v24, s19
	ds_read_b32 v26, v24
	s_mov_b64 s[28:29], 0
                                        ; implicit-def: $vgpr27
	s_waitcnt lgkmcnt(0)
	v_cmp_nlt_f32_e32 vcc, v26, v12
	s_and_saveexec_b64 s[40:41], vcc
	s_xor_b64 s[40:41], exec, s[40:41]
	s_cbranch_execnz .LBB3_372
; %bb.370:                              ;   in Loop: Header=BB3_369 Depth=2
	s_andn2_saveexec_b64 s[40:41], s[40:41]
	s_cbranch_execnz .LBB3_375
.LBB3_371:                              ;   in Loop: Header=BB3_369 Depth=2
	s_or_b64 exec, exec, s[40:41]
	s_and_saveexec_b64 s[40:41], s[28:29]
	s_cbranch_execz .LBB3_368
	s_branch .LBB3_376
.LBB3_372:                              ;   in Loop: Header=BB3_369 Depth=2
	v_cmp_eq_f32_e32 vcc, v26, v12
                                        ; implicit-def: $vgpr27
	s_and_saveexec_b64 s[42:43], vcc
	s_cbranch_execz .LBB3_374
; %bb.373:                              ;   in Loop: Header=BB3_369 Depth=2
	v_mov_b32_e32 v24, s19
	ds_read_b32 v27, v24 offset:256
	s_waitcnt lgkmcnt(0)
	v_cmp_lt_i32_e32 vcc, v27, v32
	s_and_b64 s[28:29], vcc, exec
.LBB3_374:                              ;   in Loop: Header=BB3_369 Depth=2
	s_or_b64 exec, exec, s[42:43]
	s_and_b64 s[28:29], s[28:29], exec
	s_andn2_saveexec_b64 s[40:41], s[40:41]
	s_cbranch_execz .LBB3_371
.LBB3_375:                              ;   in Loop: Header=BB3_369 Depth=2
	v_mov_b32_e32 v24, s19
	ds_read_b32 v27, v24 offset:256
	s_or_b64 s[28:29], s[28:29], exec
	s_or_b64 exec, exec, s[40:41]
	s_and_saveexec_b64 s[40:41], s[28:29]
	s_cbranch_execz .LBB3_368
.LBB3_376:                              ;   in Loop: Header=BB3_369 Depth=2
	s_waitcnt lgkmcnt(0)
	v_mov_b32_e32 v32, v27
	v_mov_b32_e32 v12, v26
	ds_write_b32 v47, v27 offset:256
	s_branch .LBB3_368
.LBB3_377:                              ;   in Loop: Header=BB3_65 Depth=1
	v_cmp_gt_f32_e32 vcc, v12, v16
	s_and_b64 exec, exec, vcc
; %bb.378:                              ;   in Loop: Header=BB3_65 Depth=1
	v_mov_b32_e32 v12, -1
	ds_write_b32 v47, v12 offset:256
.LBB3_379:                              ;   in Loop: Header=BB3_65 Depth=1
	s_or_b64 exec, exec, s[12:13]
	s_waitcnt lgkmcnt(0)
	s_barrier
	ds_read_b32 v26, v47 offset:256
	s_waitcnt lgkmcnt(0)
	v_readfirstlane_b32 s12, v26
	v_cmp_gt_i32_e32 vcc, 0, v26
	s_cmp_gt_i32 s12, -1
	s_cselect_b64 s[12:13], -1, 0
	s_cbranch_vccnz .LBB3_383
; %bb.380:                              ;   in Loop: Header=BB3_65 Depth=1
	s_and_saveexec_b64 s[28:29], s[4:5]
	s_cbranch_execz .LBB3_63
; %bb.381:                              ;   in Loop: Header=BB3_65 Depth=1
	v_add_co_u32_e32 v27, vcc, v1, v26
	v_addc_co_u32_e32 v28, vcc, 0, v2, vcc
	v_mov_b32_e32 v12, 1
	flat_store_byte v[27:28], v12
	s_and_b64 exec, exec, s[10:11]
	s_cbranch_execz .LBB3_63
; %bb.382:                              ;   in Loop: Header=BB3_65 Depth=1
	s_ashr_i32 s19, s18, 31
	s_lshl_b64 s[40:41], s[18:19], 2
	v_mov_b32_e32 v12, s41
	v_add_co_u32_e32 v27, vcc, s40, v14
	v_addc_co_u32_e32 v28, vcc, v15, v12, vcc
	flat_store_dword v[27:28], v26
	s_branch .LBB3_63
.LBB3_383:                              ;   in Loop: Header=BB3_65 Depth=1
	v_mov_b32_e32 v26, v58
	s_branch .LBB3_64
.LBB3_384:
	s_or_b64 exec, exec, s[20:21]
.LBB3_385:
	s_or_b64 exec, exec, s[16:17]
	s_barrier
	buffer_load_dword v62, off, s[0:3], s32 ; 4-byte Folded Reload
	buffer_load_dword v61, off, s[0:3], s32 offset:4 ; 4-byte Folded Reload
	buffer_load_dword v60, off, s[0:3], s32 offset:8 ; 4-byte Folded Reload
	;; [unrolled: 1-line block ×14, first 2 shown]
	v_readlane_b32 s30, v63, 7
	v_mov_b32_e32 v0, v12
	v_readlane_b32 s31, v63, 8
	v_readlane_b32 s49, v63, 6
	;; [unrolled: 1-line block ×8, first 2 shown]
	s_or_saveexec_b64 s[4:5], -1
	buffer_load_dword v63, off, s[0:3], s32 offset:116 ; 4-byte Folded Reload
	s_mov_b64 exec, s[4:5]
	s_waitcnt vmcnt(0)
	s_setpc_b64 s[30:31]
.Lfunc_end3:
	.size	_Z42generate_candidate_cluster_compact_storageiiPcPfS_PiS0_iiiS1_f, .Lfunc_end3-_Z42generate_candidate_cluster_compact_storageiiPcPfS_PiS0_iiiS1_f
                                        ; -- End function
	.set .L_Z42generate_candidate_cluster_compact_storageiiPcPfS_PiS0_iiiS1_f.num_vgpr, 64
	.set .L_Z42generate_candidate_cluster_compact_storageiiPcPfS_PiS0_iiiS1_f.num_agpr, 0
	.set .L_Z42generate_candidate_cluster_compact_storageiiPcPfS_PiS0_iiiS1_f.numbered_sgpr, 96
	.set .L_Z42generate_candidate_cluster_compact_storageiiPcPfS_PiS0_iiiS1_f.num_named_barrier, 0
	.set .L_Z42generate_candidate_cluster_compact_storageiiPcPfS_PiS0_iiiS1_f.private_seg_size, 124
	.set .L_Z42generate_candidate_cluster_compact_storageiiPcPfS_PiS0_iiiS1_f.uses_vcc, 1
	.set .L_Z42generate_candidate_cluster_compact_storageiiPcPfS_PiS0_iiiS1_f.uses_flat_scratch, 0
	.set .L_Z42generate_candidate_cluster_compact_storageiiPcPfS_PiS0_iiiS1_f.has_dyn_sized_stack, 0
	.set .L_Z42generate_candidate_cluster_compact_storageiiPcPfS_PiS0_iiiS1_f.has_recursion, 0
	.set .L_Z42generate_candidate_cluster_compact_storageiiPcPfS_PiS0_iiiS1_f.has_indirect_call, 0
	.section	.AMDGPU.csdata,"",@progbits
; Function info:
; codeLenInByte = 10112
; TotalNumSgprs: 100
; NumVgprs: 64
; ScratchSize: 124
; MemoryBound: 0
	.text
	.protected	_Z30trim_ungrouped_pnts_indr_arrayiPiPfS_PcS1_S_S_S0_S_iiif ; -- Begin function _Z30trim_ungrouped_pnts_indr_arrayiPiPfS_PcS1_S_S_S0_S_iiif
	.globl	_Z30trim_ungrouped_pnts_indr_arrayiPiPfS_PcS1_S_S_S0_S_iiif
	.p2align	8
	.type	_Z30trim_ungrouped_pnts_indr_arrayiPiPfS_PcS1_S_S_S0_S_iiif,@function
_Z30trim_ungrouped_pnts_indr_arrayiPiPfS_PcS1_S_S_S0_S_iiif: ; @_Z30trim_ungrouped_pnts_indr_arrayiPiPfS_PcS1_S_S_S0_S_iiif
; %bb.0:
	s_add_u32 s0, s0, s9
	s_load_dword s15, s[4:5], 0x0
	s_load_dwordx8 s[64:71], s[4:5], 0x8
	s_load_dwordx4 s[16:19], s[4:5], 0x28
	s_load_dwordx2 s[10:11], s[4:5], 0x40
	s_load_dwordx4 s[52:55], s[4:5], 0x50
	s_load_dwordx2 s[50:51], s[4:5], 0x6c
	s_addc_u32 s1, s1, 0
	s_mov_b32 s14, s8
	s_add_u32 s8, s4, 0x60
	s_addc_u32 s9, s5, 0
	v_mov_b32_e32 v40, v0
	s_getpc_b64 s[4:5]
	s_add_u32 s4, s4, _Z42generate_candidate_cluster_compact_storageiiPcPfS_PiS0_iiiS1_f@rel32@lo+4
	s_addc_u32 s5, s5, _Z42generate_candidate_cluster_compact_storageiiPcPfS_PiS0_iiiS1_f@rel32@hi+12
	s_mov_b32 s12, s6
	s_mov_b32 s13, s7
	v_mov_b32_e32 v31, v0
	s_waitcnt lgkmcnt(0)
	v_mov_b32_e32 v0, s15
	v_mov_b32_e32 v1, s70
	;; [unrolled: 1-line block ×17, first 2 shown]
	s_mov_b32 s32, 0
	s_swappc_b64 s[30:31], s[4:5]
	v_cmp_eq_u32_e64 s[4:5], 0, v40
	s_and_saveexec_b64 s[6:7], s[4:5]
	s_cbranch_execz .LBB4_2
; %bb.1:
	v_mov_b32_e32 v0, 0
	ds_write_b32 v0, v0 offset:768
	ds_write_b8 v0, v0 offset:772
.LBB4_2:
	s_or_b64 exec, exec, s[6:7]
	v_cmp_gt_i32_e32 vcc, s52, v40
	s_waitcnt lgkmcnt(0)
	s_barrier
	s_and_saveexec_b64 s[6:7], vcc
	s_cbranch_execz .LBB4_20
; %bb.3:
	s_and_b32 s51, s51, 0xffff
	s_lshr_b32 s6, s50, 16
	s_and_b32 s7, s50, 0xffff
	s_mul_i32 s16, s6, s7
	s_and_b32 s6, s51, 0xffff
	s_mul_i32 s16, s16, s6
	s_cmp_gt_i32 s16, 0
	v_mov_b32_e32 v0, 0x200
	s_cselect_b64 s[8:9], -1, 0
	v_lshl_add_u32 v0, v40, 2, v0
	s_mov_b32 s17, 0
	s_mov_b64 s[6:7], 0
	v_mov_b32_e32 v1, s65
	v_mov_b32_e32 v2, s71
	;; [unrolled: 1-line block ×4, first 2 shown]
	v_not_b32_e32 v5, 41
	s_xor_b64 s[8:9], s[8:9], -1
	s_movk_i32 s18, 0xffd6
	s_branch .LBB4_7
.LBB4_4:                                ;   in Loop: Header=BB4_7 Depth=1
	s_mov_b32 s13, s12
.LBB4_5:                                ;   in Loop: Header=BB4_7 Depth=1
	v_mov_b32_e32 v6, s13
	ds_write_b32 v3, v6 offset:768
	ds_write_b8 v3, v3 offset:772
.LBB4_6:                                ;   in Loop: Header=BB4_7 Depth=1
	s_or_b64 exec, exec, s[10:11]
	s_add_i32 s17, s17, s16
	v_add_u32_e32 v6, s17, v40
	v_cmp_le_i32_e32 vcc, s52, v6
	s_or_b64 s[6:7], vcc, s[6:7]
	s_waitcnt vmcnt(0) lgkmcnt(0)
	s_barrier
	s_andn2_b64 exec, exec, s[6:7]
	s_cbranch_execz .LBB4_20
.LBB4_7:                                ; =>This Loop Header: Depth=1
                                        ;     Child Loop BB4_18 Depth 2
	v_add_u32_e32 v6, s17, v40
	v_ashrrev_i32_e32 v7, 31, v6
	v_lshlrev_b64 v[6:7], 2, v[6:7]
	v_add_co_u32_e32 v6, vcc, s64, v6
	v_addc_co_u32_e32 v7, vcc, v1, v7, vcc
	global_load_dword v6, v[6:7], off
	s_waitcnt vmcnt(0)
	v_ashrrev_i32_e32 v8, 31, v6
	v_add_co_u32_e32 v7, vcc, s70, v6
	v_addc_co_u32_e32 v8, vcc, v2, v8, vcc
	global_load_ubyte v7, v[7:8], off
	ds_write_b32 v0, v6
	s_waitcnt vmcnt(0)
	v_cmp_ne_u16_e32 vcc, 1, v7
	s_and_saveexec_b64 s[10:11], vcc
	s_xor_b64 s[10:11], exec, s[10:11]
	s_cbranch_execz .LBB4_9
; %bb.8:                                ;   in Loop: Header=BB4_7 Depth=1
	ds_read_b32 v7, v3 offset:768
	s_waitcnt lgkmcnt(0)
	v_add_u32_e32 v7, v7, v40
	v_ashrrev_i32_e32 v8, 31, v7
	v_lshlrev_b64 v[7:8], 2, v[7:8]
	v_add_co_u32_e32 v7, vcc, s64, v7
	v_addc_co_u32_e32 v8, vcc, v1, v8, vcc
	global_store_dword v[7:8], v6, off
.LBB4_9:                                ;   in Loop: Header=BB4_7 Depth=1
	s_andn2_saveexec_b64 s[10:11], s[10:11]
	s_cbranch_execz .LBB4_11
; %bb.10:                               ;   in Loop: Header=BB4_7 Depth=1
	ds_write_b8 v3, v4 offset:772
	ds_write_b32 v0, v5
.LBB4_11:                               ;   in Loop: Header=BB4_7 Depth=1
	s_or_b64 exec, exec, s[10:11]
	s_waitcnt vmcnt(0) lgkmcnt(0)
	s_barrier
	s_and_saveexec_b64 s[10:11], s[4:5]
	s_cbranch_execz .LBB4_6
; %bb.12:                               ;   in Loop: Header=BB4_7 Depth=1
	ds_read_u8 v6, v3 offset:772
	ds_read_b32 v7, v3 offset:768
	s_mov_b64 s[14:15], -1
                                        ; implicit-def: $sgpr13
	s_waitcnt lgkmcnt(1)
	v_cmp_eq_u32_e32 vcc, 0, v6
	s_waitcnt lgkmcnt(0)
	v_readfirstlane_b32 s12, v7
	s_cbranch_vccz .LBB4_14
; %bb.13:                               ;   in Loop: Header=BB4_7 Depth=1
	s_add_i32 s13, s12, s16
	s_mov_b64 s[14:15], 0
.LBB4_14:                               ;   in Loop: Header=BB4_7 Depth=1
	s_andn2_b64 vcc, exec, s[14:15]
	s_cbranch_vccnz .LBB4_5
; %bb.15:                               ;   in Loop: Header=BB4_7 Depth=1
	s_cmp_ge_i32 s17, s52
	s_cselect_b64 s[14:15], -1, 0
	s_or_b64 s[14:15], s[8:9], s[14:15]
	s_and_b64 vcc, exec, s[14:15]
	s_cbranch_vccnz .LBB4_4
; %bb.16:                               ;   in Loop: Header=BB4_7 Depth=1
	s_mov_b32 s14, 1
	s_movk_i32 s15, 0x200
	s_branch .LBB4_18
.LBB4_17:                               ;   in Loop: Header=BB4_18 Depth=2
	s_cmp_lt_i32 s14, s16
	s_cselect_b64 s[20:21], -1, 0
	s_add_i32 s13, s17, s14
	s_cmp_lt_i32 s13, s52
	s_cselect_b64 s[22:23], -1, 0
	s_and_b64 s[20:21], s[20:21], s[22:23]
	s_add_i32 s14, s14, 1
	s_andn2_b64 vcc, exec, s[20:21]
	s_add_i32 s15, s15, 4
	s_cbranch_vccnz .LBB4_4
.LBB4_18:                               ;   Parent Loop BB4_7 Depth=1
                                        ; =>  This Inner Loop Header: Depth=2
	v_mov_b32_e32 v6, s15
	ds_read_b32 v6, v6
	s_waitcnt lgkmcnt(0)
	v_cmp_eq_u32_e32 vcc, s18, v6
	s_cbranch_vccnz .LBB4_17
; %bb.19:                               ;   in Loop: Header=BB4_18 Depth=2
	s_ashr_i32 s13, s12, 31
	s_add_i32 s19, s12, 1
	s_lshl_b64 s[12:13], s[12:13], 2
	s_add_u32 s12, s64, s12
	s_addc_u32 s13, s65, s13
	global_store_dword v3, v6, s[12:13]
	s_mov_b32 s12, s19
	s_branch .LBB4_17
.LBB4_20:
	s_endpgm
	.section	.rodata,"a",@progbits
	.p2align	6, 0x0
	.amdhsa_kernel _Z30trim_ungrouped_pnts_indr_arrayiPiPfS_PcS1_S_S_S0_S_iiif
		.amdhsa_group_segment_fixed_size 776
		.amdhsa_private_segment_fixed_size 124
		.amdhsa_kernarg_size 352
		.amdhsa_user_sgpr_count 6
		.amdhsa_user_sgpr_private_segment_buffer 1
		.amdhsa_user_sgpr_dispatch_ptr 0
		.amdhsa_user_sgpr_queue_ptr 0
		.amdhsa_user_sgpr_kernarg_segment_ptr 1
		.amdhsa_user_sgpr_dispatch_id 0
		.amdhsa_user_sgpr_flat_scratch_init 0
		.amdhsa_user_sgpr_private_segment_size 0
		.amdhsa_uses_dynamic_stack 0
		.amdhsa_system_sgpr_private_segment_wavefront_offset 1
		.amdhsa_system_sgpr_workgroup_id_x 1
		.amdhsa_system_sgpr_workgroup_id_y 1
		.amdhsa_system_sgpr_workgroup_id_z 1
		.amdhsa_system_sgpr_workgroup_info 0
		.amdhsa_system_vgpr_workitem_id 0
		.amdhsa_next_free_vgpr 64
		.amdhsa_next_free_sgpr 96
		.amdhsa_reserve_vcc 1
		.amdhsa_reserve_flat_scratch 0
		.amdhsa_float_round_mode_32 0
		.amdhsa_float_round_mode_16_64 0
		.amdhsa_float_denorm_mode_32 3
		.amdhsa_float_denorm_mode_16_64 3
		.amdhsa_dx10_clamp 1
		.amdhsa_ieee_mode 1
		.amdhsa_fp16_overflow 0
		.amdhsa_exception_fp_ieee_invalid_op 0
		.amdhsa_exception_fp_denorm_src 0
		.amdhsa_exception_fp_ieee_div_zero 0
		.amdhsa_exception_fp_ieee_overflow 0
		.amdhsa_exception_fp_ieee_underflow 0
		.amdhsa_exception_fp_ieee_inexact 0
		.amdhsa_exception_int_div_zero 0
	.end_amdhsa_kernel
	.text
.Lfunc_end4:
	.size	_Z30trim_ungrouped_pnts_indr_arrayiPiPfS_PcS1_S_S_S0_S_iiif, .Lfunc_end4-_Z30trim_ungrouped_pnts_indr_arrayiPiPfS_PcS1_S_S_S0_S_iiif
                                        ; -- End function
	.set _Z30trim_ungrouped_pnts_indr_arrayiPiPfS_PcS1_S_S_S0_S_iiif.num_vgpr, max(41, .L_Z42generate_candidate_cluster_compact_storageiiPcPfS_PiS0_iiiS1_f.num_vgpr)
	.set _Z30trim_ungrouped_pnts_indr_arrayiPiPfS_PcS1_S_S_S0_S_iiif.num_agpr, max(0, .L_Z42generate_candidate_cluster_compact_storageiiPcPfS_PiS0_iiiS1_f.num_agpr)
	.set _Z30trim_ungrouped_pnts_indr_arrayiPiPfS_PcS1_S_S_S0_S_iiif.numbered_sgpr, max(72, .L_Z42generate_candidate_cluster_compact_storageiiPcPfS_PiS0_iiiS1_f.numbered_sgpr)
	.set _Z30trim_ungrouped_pnts_indr_arrayiPiPfS_PcS1_S_S_S0_S_iiif.num_named_barrier, max(0, .L_Z42generate_candidate_cluster_compact_storageiiPcPfS_PiS0_iiiS1_f.num_named_barrier)
	.set _Z30trim_ungrouped_pnts_indr_arrayiPiPfS_PcS1_S_S_S0_S_iiif.private_seg_size, 0+max(.L_Z42generate_candidate_cluster_compact_storageiiPcPfS_PiS0_iiiS1_f.private_seg_size)
	.set _Z30trim_ungrouped_pnts_indr_arrayiPiPfS_PcS1_S_S_S0_S_iiif.uses_vcc, or(1, .L_Z42generate_candidate_cluster_compact_storageiiPcPfS_PiS0_iiiS1_f.uses_vcc)
	.set _Z30trim_ungrouped_pnts_indr_arrayiPiPfS_PcS1_S_S_S0_S_iiif.uses_flat_scratch, or(0, .L_Z42generate_candidate_cluster_compact_storageiiPcPfS_PiS0_iiiS1_f.uses_flat_scratch)
	.set _Z30trim_ungrouped_pnts_indr_arrayiPiPfS_PcS1_S_S_S0_S_iiif.has_dyn_sized_stack, or(0, .L_Z42generate_candidate_cluster_compact_storageiiPcPfS_PiS0_iiiS1_f.has_dyn_sized_stack)
	.set _Z30trim_ungrouped_pnts_indr_arrayiPiPfS_PcS1_S_S_S0_S_iiif.has_recursion, or(0, .L_Z42generate_candidate_cluster_compact_storageiiPcPfS_PiS0_iiiS1_f.has_recursion)
	.set _Z30trim_ungrouped_pnts_indr_arrayiPiPfS_PcS1_S_S_S0_S_iiif.has_indirect_call, or(0, .L_Z42generate_candidate_cluster_compact_storageiiPcPfS_PiS0_iiiS1_f.has_indirect_call)
	.section	.AMDGPU.csdata,"",@progbits
; Kernel info:
; codeLenInByte = 772
; TotalNumSgprs: 100
; NumVgprs: 64
; ScratchSize: 124
; MemoryBound: 0
; FloatMode: 240
; IeeeMode: 1
; LDSByteSize: 776 bytes/workgroup (compile time only)
; SGPRBlocks: 12
; VGPRBlocks: 15
; NumSGPRsForWavesPerEU: 100
; NumVGPRsForWavesPerEU: 64
; Occupancy: 4
; WaveLimiterHint : 1
; COMPUTE_PGM_RSRC2:SCRATCH_EN: 1
; COMPUTE_PGM_RSRC2:USER_SGPR: 6
; COMPUTE_PGM_RSRC2:TRAP_HANDLER: 0
; COMPUTE_PGM_RSRC2:TGID_X_EN: 1
; COMPUTE_PGM_RSRC2:TGID_Y_EN: 1
; COMPUTE_PGM_RSRC2:TGID_Z_EN: 1
; COMPUTE_PGM_RSRC2:TIDIG_COMP_CNT: 0
	.text
	.protected	_Z10QTC_devicePfPcS0_PiS1_S1_S_S1_iiifiii ; -- Begin function _Z10QTC_devicePfPcS0_PiS1_S1_S_S1_iiifiii
	.globl	_Z10QTC_devicePfPcS0_PiS1_S1_S_S1_iiifiii
	.p2align	8
	.type	_Z10QTC_devicePfPcS0_PiS1_S1_S_S1_iiifiii,@function
_Z10QTC_devicePfPcS0_PiS1_S1_S_S1_iiifiii: ; @_Z10QTC_devicePfPcS0_PiS1_S1_S_S1_iiifiii
; %bb.0:
	s_load_dwordx8 s[64:71], s[4:5], 0x40
	s_load_dwordx16 s[16:31], s[4:5], 0x0
	s_add_u32 s0, s0, s9
	s_mov_b64 s[50:51], s[4:5]
	s_addc_u32 s1, s1, 0
	s_waitcnt lgkmcnt(0)
	s_mul_i32 s4, s69, s6
	s_add_i32 s53, s4, s68
	s_mov_b32 s33, s6
	v_mov_b32_e32 v40, v0
	s_cmp_ge_i32 s53, s64
	s_movk_i32 s32, 0x1400
	s_cbranch_scc1 .LBB5_5
; %bb.1:
	s_mul_i32 s5, s65, s33
	s_ashr_i32 s6, s5, 31
	s_add_u32 s82, s18, s5
	s_addc_u32 s83, s19, s6
	s_mul_i32 s6, s66, s33
	s_mov_b32 s52, s7
	s_ashr_i32 s7, s6, 31
	s_lshl_b64 s[6:7], s[6:7], 2
	s_add_u32 s84, s28, s6
	s_addc_u32 s85, s29, s7
	s_ashr_i32 s5, s68, 31
	s_ashr_i32 s6, s4, 31
	s_add_u32 s4, s68, s4
	s_addc_u32 s5, s5, s6
	s_lshl_b64 s[4:5], s[4:5], 2
	s_add_u32 s54, s26, s4
	s_addc_u32 s55, s27, s5
	s_ashr_i32 s71, s70, 31
	s_mov_b32 s37, s8
	s_lshl_b64 s[68:69], s[70:71], 2
	v_mov_b32_e32 v43, -1
	v_mov_b32_e32 v45, 0
	v_mov_b32_e32 v46, s31
	s_branch .LBB5_3
.LBB5_2:                                ;   in Loop: Header=BB5_3 Depth=1
	s_or_b64 exec, exec, s[80:81]
	s_add_i32 s53, s53, s70
	s_add_u32 s54, s54, s68
	s_addc_u32 s55, s55, s69
	s_cmp_lt_i32 s53, s64
	s_cbranch_scc0 .LBB5_6
.LBB5_3:                                ; =>This Inner Loop Header: Depth=1
	global_load_dword v41, v45, s[54:55]
	s_waitcnt vmcnt(0)
	v_ashrrev_i32_e32 v42, 31, v41
	v_lshlrev_b64 v[0:1], 2, v[41:42]
	s_waitcnt lgkmcnt(0)
	v_add_co_u32_e32 v0, vcc, s30, v0
	v_addc_co_u32_e32 v1, vcc, v46, v1, vcc
	global_load_dword v0, v[0:1], off
	s_waitcnt vmcnt(0)
	v_cmp_gt_i32_e32 vcc, v0, v43
	s_and_saveexec_b64 s[80:81], vcc
	s_cbranch_execz .LBB5_2
; %bb.4:                                ;   in Loop: Header=BB5_3 Depth=1
	s_add_u32 s8, s50, 0x60
	s_addc_u32 s9, s51, 0
	s_getpc_b64 s[4:5]
	s_add_u32 s4, s4, _Z42generate_candidate_cluster_compact_storageiiPcPfS_PiS0_iiiS1_f@rel32@lo+4
	s_addc_u32 s5, s5, _Z42generate_candidate_cluster_compact_storageiiPcPfS_PiS0_iiiS1_f@rel32@hi+12
	s_mov_b32 s12, s33
	s_mov_b32 s13, s52
	;; [unrolled: 1-line block ×3, first 2 shown]
	v_mov_b32_e32 v31, v40
	v_mov_b32_e32 v0, v41
	;; [unrolled: 1-line block ×18, first 2 shown]
	s_swappc_b64 s[30:31], s[4:5]
	s_load_dwordx16 s[16:31], s[50:51], 0x0
	v_cmp_gt_i32_e32 vcc, v0, v43
	v_cndmask_b32_e32 v44, v44, v41, vcc
	v_max_i32_e32 v43, v0, v43
	s_branch .LBB5_2
.LBB5_5:
	v_mov_b32_e32 v43, -1
.LBB5_6:
	v_cmp_eq_u32_e32 vcc, 0, v40
	s_and_saveexec_b64 s[4:5], vcc
	s_cbranch_execz .LBB5_8
; %bb.7:
	s_lshl_b32 s4, s33, 1
	s_ashr_i32 s5, s4, 31
	s_lshl_b64 s[4:5], s[4:5], 2
	s_waitcnt lgkmcnt(0)
	s_add_u32 s4, s24, s4
	s_addc_u32 s5, s25, s5
	v_mov_b32_e32 v0, 0
	global_store_dwordx2 v0, v[43:44], s[4:5]
.LBB5_8:
	s_endpgm
	.section	.rodata,"a",@progbits
	.p2align	6, 0x0
	.amdhsa_kernel _Z10QTC_devicePfPcS0_PiS1_S1_S_S1_iiifiii
		.amdhsa_group_segment_fixed_size 512
		.amdhsa_private_segment_fixed_size 204
		.amdhsa_kernarg_size 352
		.amdhsa_user_sgpr_count 6
		.amdhsa_user_sgpr_private_segment_buffer 1
		.amdhsa_user_sgpr_dispatch_ptr 0
		.amdhsa_user_sgpr_queue_ptr 0
		.amdhsa_user_sgpr_kernarg_segment_ptr 1
		.amdhsa_user_sgpr_dispatch_id 0
		.amdhsa_user_sgpr_flat_scratch_init 0
		.amdhsa_user_sgpr_private_segment_size 0
		.amdhsa_uses_dynamic_stack 0
		.amdhsa_system_sgpr_private_segment_wavefront_offset 1
		.amdhsa_system_sgpr_workgroup_id_x 1
		.amdhsa_system_sgpr_workgroup_id_y 1
		.amdhsa_system_sgpr_workgroup_id_z 1
		.amdhsa_system_sgpr_workgroup_info 0
		.amdhsa_system_vgpr_workitem_id 0
		.amdhsa_next_free_vgpr 64
		.amdhsa_next_free_sgpr 96
		.amdhsa_reserve_vcc 1
		.amdhsa_reserve_flat_scratch 0
		.amdhsa_float_round_mode_32 0
		.amdhsa_float_round_mode_16_64 0
		.amdhsa_float_denorm_mode_32 3
		.amdhsa_float_denorm_mode_16_64 3
		.amdhsa_dx10_clamp 1
		.amdhsa_ieee_mode 1
		.amdhsa_fp16_overflow 0
		.amdhsa_exception_fp_ieee_invalid_op 0
		.amdhsa_exception_fp_denorm_src 0
		.amdhsa_exception_fp_ieee_div_zero 0
		.amdhsa_exception_fp_ieee_overflow 0
		.amdhsa_exception_fp_ieee_underflow 0
		.amdhsa_exception_fp_ieee_inexact 0
		.amdhsa_exception_int_div_zero 0
	.end_amdhsa_kernel
	.text
.Lfunc_end5:
	.size	_Z10QTC_devicePfPcS0_PiS1_S1_S_S1_iiifiii, .Lfunc_end5-_Z10QTC_devicePfPcS0_PiS1_S1_S_S1_iiifiii
                                        ; -- End function
	.set _Z10QTC_devicePfPcS0_PiS1_S1_S_S1_iiifiii.num_vgpr, max(47, .L_Z42generate_candidate_cluster_compact_storageiiPcPfS_PiS0_iiiS1_f.num_vgpr)
	.set _Z10QTC_devicePfPcS0_PiS1_S1_S_S1_iiifiii.num_agpr, max(0, .L_Z42generate_candidate_cluster_compact_storageiiPcPfS_PiS0_iiiS1_f.num_agpr)
	.set _Z10QTC_devicePfPcS0_PiS1_S1_S_S1_iiifiii.numbered_sgpr, max(86, .L_Z42generate_candidate_cluster_compact_storageiiPcPfS_PiS0_iiiS1_f.numbered_sgpr)
	.set _Z10QTC_devicePfPcS0_PiS1_S1_S_S1_iiifiii.num_named_barrier, max(0, .L_Z42generate_candidate_cluster_compact_storageiiPcPfS_PiS0_iiiS1_f.num_named_barrier)
	.set _Z10QTC_devicePfPcS0_PiS1_S1_S_S1_iiifiii.private_seg_size, 80+max(.L_Z42generate_candidate_cluster_compact_storageiiPcPfS_PiS0_iiiS1_f.private_seg_size)
	.set _Z10QTC_devicePfPcS0_PiS1_S1_S_S1_iiifiii.uses_vcc, or(1, .L_Z42generate_candidate_cluster_compact_storageiiPcPfS_PiS0_iiiS1_f.uses_vcc)
	.set _Z10QTC_devicePfPcS0_PiS1_S1_S_S1_iiifiii.uses_flat_scratch, or(0, .L_Z42generate_candidate_cluster_compact_storageiiPcPfS_PiS0_iiiS1_f.uses_flat_scratch)
	.set _Z10QTC_devicePfPcS0_PiS1_S1_S_S1_iiifiii.has_dyn_sized_stack, or(0, .L_Z42generate_candidate_cluster_compact_storageiiPcPfS_PiS0_iiiS1_f.has_dyn_sized_stack)
	.set _Z10QTC_devicePfPcS0_PiS1_S1_S_S1_iiifiii.has_recursion, or(0, .L_Z42generate_candidate_cluster_compact_storageiiPcPfS_PiS0_iiiS1_f.has_recursion)
	.set _Z10QTC_devicePfPcS0_PiS1_S1_S_S1_iiifiii.has_indirect_call, or(0, .L_Z42generate_candidate_cluster_compact_storageiiPcPfS_PiS0_iiiS1_f.has_indirect_call)
	.section	.AMDGPU.csdata,"",@progbits
; Kernel info:
; codeLenInByte = 440
; TotalNumSgprs: 100
; NumVgprs: 64
; ScratchSize: 204
; MemoryBound: 0
; FloatMode: 240
; IeeeMode: 1
; LDSByteSize: 512 bytes/workgroup (compile time only)
; SGPRBlocks: 12
; VGPRBlocks: 15
; NumSGPRsForWavesPerEU: 100
; NumVGPRsForWavesPerEU: 64
; Occupancy: 4
; WaveLimiterHint : 1
; COMPUTE_PGM_RSRC2:SCRATCH_EN: 1
; COMPUTE_PGM_RSRC2:USER_SGPR: 6
; COMPUTE_PGM_RSRC2:TRAP_HANDLER: 0
; COMPUTE_PGM_RSRC2:TGID_X_EN: 1
; COMPUTE_PGM_RSRC2:TGID_Y_EN: 1
; COMPUTE_PGM_RSRC2:TGID_Z_EN: 1
; COMPUTE_PGM_RSRC2:TIDIG_COMP_CNT: 0
	.section	.AMDGPU.gpr_maximums,"",@progbits
	.set amdgpu.max_num_vgpr, 64
	.set amdgpu.max_num_agpr, 0
	.set amdgpu.max_num_sgpr, 96
	.section	.AMDGPU.csdata,"",@progbits
	.type	__hip_cuid_80a58374eb06fc01,@object ; @__hip_cuid_80a58374eb06fc01
	.section	.bss,"aw",@nobits
	.globl	__hip_cuid_80a58374eb06fc01
__hip_cuid_80a58374eb06fc01:
	.byte	0                               ; 0x0
	.size	__hip_cuid_80a58374eb06fc01, 1

	.ident	"AMD clang version 22.0.0git (https://github.com/RadeonOpenCompute/llvm-project roc-7.2.4 26084 f58b06dce1f9c15707c5f808fd002e18c2accf7e)"
	.section	".note.GNU-stack","",@progbits
	.addrsig
	.addrsig_sym __hip_cuid_80a58374eb06fc01
	.amdgpu_metadata
---
amdhsa.kernels:
  - .args:
      - .address_space:  global
        .offset:         0
        .size:           8
        .value_kind:     global_buffer
      - .offset:         8
        .size:           4
        .value_kind:     by_value
    .group_segment_fixed_size: 0
    .kernarg_segment_align: 8
    .kernarg_segment_size: 12
    .language:       OpenCL C
    .language_version:
      - 2
      - 0
    .max_flat_workgroup_size: 1024
    .name:           _Z18reduce_card_devicePii
    .private_segment_fixed_size: 0
    .sgpr_count:     14
    .sgpr_spill_count: 0
    .symbol:         _Z18reduce_card_devicePii.kd
    .uniform_work_group_size: 1
    .uses_dynamic_stack: false
    .vgpr_count:     3
    .vgpr_spill_count: 0
    .wavefront_size: 64
  - .args:
      - .address_space:  global
        .offset:         0
        .size:           8
        .value_kind:     global_buffer
      - .address_space:  global
        .offset:         8
        .size:           8
        .value_kind:     global_buffer
      - .offset:         16
        .size:           4
        .value_kind:     by_value
      - .offset:         20
        .size:           4
        .value_kind:     by_value
      - .offset:         24
        .size:           4
        .value_kind:     hidden_block_count_x
      - .offset:         28
        .size:           4
        .value_kind:     hidden_block_count_y
      - .offset:         32
        .size:           4
        .value_kind:     hidden_block_count_z
      - .offset:         36
        .size:           2
        .value_kind:     hidden_group_size_x
      - .offset:         38
        .size:           2
        .value_kind:     hidden_group_size_y
      - .offset:         40
        .size:           2
        .value_kind:     hidden_group_size_z
      - .offset:         42
        .size:           2
        .value_kind:     hidden_remainder_x
      - .offset:         44
        .size:           2
        .value_kind:     hidden_remainder_y
      - .offset:         46
        .size:           2
        .value_kind:     hidden_remainder_z
      - .offset:         64
        .size:           8
        .value_kind:     hidden_global_offset_x
      - .offset:         72
        .size:           8
        .value_kind:     hidden_global_offset_y
      - .offset:         80
        .size:           8
        .value_kind:     hidden_global_offset_z
      - .offset:         88
        .size:           2
        .value_kind:     hidden_grid_dims
    .group_segment_fixed_size: 0
    .kernarg_segment_align: 8
    .kernarg_segment_size: 280
    .language:       OpenCL C
    .language_version:
      - 2
      - 0
    .max_flat_workgroup_size: 1024
    .name:           _Z15compute_degreesPiS_ii
    .private_segment_fixed_size: 0
    .sgpr_count:     21
    .sgpr_spill_count: 0
    .symbol:         _Z15compute_degreesPiS_ii.kd
    .uniform_work_group_size: 1
    .uses_dynamic_stack: false
    .vgpr_count:     8
    .vgpr_spill_count: 0
    .wavefront_size: 64
  - .args:
      - .address_space:  global
        .offset:         0
        .size:           8
        .value_kind:     global_buffer
      - .address_space:  global
        .offset:         8
        .size:           8
        .value_kind:     global_buffer
      - .offset:         16
        .size:           4
        .value_kind:     by_value
      - .offset:         24
        .size:           4
        .value_kind:     hidden_block_count_x
      - .offset:         28
        .size:           4
        .value_kind:     hidden_block_count_y
      - .offset:         32
        .size:           4
        .value_kind:     hidden_block_count_z
      - .offset:         36
        .size:           2
        .value_kind:     hidden_group_size_x
      - .offset:         38
        .size:           2
        .value_kind:     hidden_group_size_y
      - .offset:         40
        .size:           2
        .value_kind:     hidden_group_size_z
      - .offset:         42
        .size:           2
        .value_kind:     hidden_remainder_x
      - .offset:         44
        .size:           2
        .value_kind:     hidden_remainder_y
      - .offset:         46
        .size:           2
        .value_kind:     hidden_remainder_z
      - .offset:         64
        .size:           8
        .value_kind:     hidden_global_offset_x
      - .offset:         72
        .size:           8
        .value_kind:     hidden_global_offset_y
      - .offset:         80
        .size:           8
        .value_kind:     hidden_global_offset_z
      - .offset:         88
        .size:           2
        .value_kind:     hidden_grid_dims
    .group_segment_fixed_size: 0
    .kernarg_segment_align: 8
    .kernarg_segment_size: 280
    .language:       OpenCL C
    .language_version:
      - 2
      - 0
    .max_flat_workgroup_size: 1024
    .name:           _Z26update_clustered_pnts_maskPcS_i
    .private_segment_fixed_size: 0
    .sgpr_count:     20
    .sgpr_spill_count: 0
    .symbol:         _Z26update_clustered_pnts_maskPcS_i.kd
    .uniform_work_group_size: 1
    .uses_dynamic_stack: false
    .vgpr_count:     11
    .vgpr_spill_count: 0
    .wavefront_size: 64
  - .args:
      - .offset:         0
        .size:           4
        .value_kind:     by_value
      - .address_space:  global
        .offset:         8
        .size:           8
        .value_kind:     global_buffer
      - .address_space:  global
        .offset:         16
        .size:           8
        .value_kind:     global_buffer
      - .address_space:  global
        .offset:         24
        .size:           8
        .value_kind:     global_buffer
      - .address_space:  global
        .offset:         32
        .size:           8
        .value_kind:     global_buffer
      - .address_space:  global
        .offset:         40
        .size:           8
        .value_kind:     global_buffer
      - .address_space:  global
        .offset:         48
        .size:           8
        .value_kind:     global_buffer
      - .address_space:  global
        .offset:         56
        .size:           8
        .value_kind:     global_buffer
      - .address_space:  global
        .offset:         64
        .size:           8
        .value_kind:     global_buffer
      - .address_space:  global
        .offset:         72
        .size:           8
        .value_kind:     global_buffer
      - .offset:         80
        .size:           4
        .value_kind:     by_value
      - .offset:         84
        .size:           4
        .value_kind:     by_value
      - .offset:         88
        .size:           4
        .value_kind:     by_value
      - .offset:         92
        .size:           4
        .value_kind:     by_value
      - .offset:         96
        .size:           4
        .value_kind:     hidden_block_count_x
      - .offset:         100
        .size:           4
        .value_kind:     hidden_block_count_y
      - .offset:         104
        .size:           4
        .value_kind:     hidden_block_count_z
      - .offset:         108
        .size:           2
        .value_kind:     hidden_group_size_x
      - .offset:         110
        .size:           2
        .value_kind:     hidden_group_size_y
      - .offset:         112
        .size:           2
        .value_kind:     hidden_group_size_z
      - .offset:         114
        .size:           2
        .value_kind:     hidden_remainder_x
      - .offset:         116
        .size:           2
        .value_kind:     hidden_remainder_y
      - .offset:         118
        .size:           2
        .value_kind:     hidden_remainder_z
      - .offset:         136
        .size:           8
        .value_kind:     hidden_global_offset_x
      - .offset:         144
        .size:           8
        .value_kind:     hidden_global_offset_y
      - .offset:         152
        .size:           8
        .value_kind:     hidden_global_offset_z
      - .offset:         160
        .size:           2
        .value_kind:     hidden_grid_dims
    .group_segment_fixed_size: 776
    .kernarg_segment_align: 8
    .kernarg_segment_size: 352
    .language:       OpenCL C
    .language_version:
      - 2
      - 0
    .max_flat_workgroup_size: 1024
    .name:           _Z30trim_ungrouped_pnts_indr_arrayiPiPfS_PcS1_S_S_S0_S_iiif
    .private_segment_fixed_size: 124
    .sgpr_count:     100
    .sgpr_spill_count: 0
    .symbol:         _Z30trim_ungrouped_pnts_indr_arrayiPiPfS_PcS1_S_S_S0_S_iiif.kd
    .uniform_work_group_size: 1
    .uses_dynamic_stack: false
    .vgpr_count:     64
    .vgpr_spill_count: 0
    .wavefront_size: 64
  - .args:
      - .address_space:  global
        .offset:         0
        .size:           8
        .value_kind:     global_buffer
      - .address_space:  global
        .offset:         8
        .size:           8
        .value_kind:     global_buffer
      - .address_space:  global
        .offset:         16
        .size:           8
        .value_kind:     global_buffer
      - .address_space:  global
        .offset:         24
        .size:           8
        .value_kind:     global_buffer
      - .address_space:  global
        .offset:         32
        .size:           8
        .value_kind:     global_buffer
      - .address_space:  global
        .offset:         40
        .size:           8
        .value_kind:     global_buffer
      - .address_space:  global
        .offset:         48
        .size:           8
        .value_kind:     global_buffer
      - .address_space:  global
        .offset:         56
        .size:           8
        .value_kind:     global_buffer
      - .offset:         64
        .size:           4
        .value_kind:     by_value
      - .offset:         68
        .size:           4
        .value_kind:     by_value
      - .offset:         72
        .size:           4
        .value_kind:     by_value
      - .offset:         76
        .size:           4
        .value_kind:     by_value
      - .offset:         80
        .size:           4
        .value_kind:     by_value
      - .offset:         84
        .size:           4
        .value_kind:     by_value
      - .offset:         88
        .size:           4
        .value_kind:     by_value
      - .offset:         96
        .size:           4
        .value_kind:     hidden_block_count_x
      - .offset:         100
        .size:           4
        .value_kind:     hidden_block_count_y
      - .offset:         104
        .size:           4
        .value_kind:     hidden_block_count_z
      - .offset:         108
        .size:           2
        .value_kind:     hidden_group_size_x
      - .offset:         110
        .size:           2
        .value_kind:     hidden_group_size_y
      - .offset:         112
        .size:           2
        .value_kind:     hidden_group_size_z
      - .offset:         114
        .size:           2
        .value_kind:     hidden_remainder_x
      - .offset:         116
        .size:           2
        .value_kind:     hidden_remainder_y
      - .offset:         118
        .size:           2
        .value_kind:     hidden_remainder_z
      - .offset:         136
        .size:           8
        .value_kind:     hidden_global_offset_x
      - .offset:         144
        .size:           8
        .value_kind:     hidden_global_offset_y
      - .offset:         152
        .size:           8
        .value_kind:     hidden_global_offset_z
      - .offset:         160
        .size:           2
        .value_kind:     hidden_grid_dims
    .group_segment_fixed_size: 512
    .kernarg_segment_align: 8
    .kernarg_segment_size: 352
    .language:       OpenCL C
    .language_version:
      - 2
      - 0
    .max_flat_workgroup_size: 1024
    .name:           _Z10QTC_devicePfPcS0_PiS1_S1_S_S1_iiifiii
    .private_segment_fixed_size: 204
    .sgpr_count:     100
    .sgpr_spill_count: 0
    .symbol:         _Z10QTC_devicePfPcS0_PiS1_S1_S_S1_iiifiii.kd
    .uniform_work_group_size: 1
    .uses_dynamic_stack: false
    .vgpr_count:     64
    .vgpr_spill_count: 0
    .wavefront_size: 64
amdhsa.target:   amdgcn-amd-amdhsa--gfx906
amdhsa.version:
  - 1
  - 2
...

	.end_amdgpu_metadata
